;; amdgpu-corpus repo=ROCm/rocFFT kind=compiled arch=gfx950 opt=O3
	.text
	.amdgcn_target "amdgcn-amd-amdhsa--gfx950"
	.amdhsa_code_object_version 6
	.protected	bluestein_single_fwd_len1080_dim1_sp_op_CI_CI ; -- Begin function bluestein_single_fwd_len1080_dim1_sp_op_CI_CI
	.globl	bluestein_single_fwd_len1080_dim1_sp_op_CI_CI
	.p2align	8
	.type	bluestein_single_fwd_len1080_dim1_sp_op_CI_CI,@function
bluestein_single_fwd_len1080_dim1_sp_op_CI_CI: ; @bluestein_single_fwd_len1080_dim1_sp_op_CI_CI
; %bb.0:
	s_load_dwordx4 s[8:11], s[0:1], 0x28
	v_mul_u32_u24_e32 v1, 0x25f, v0
	v_lshrrev_b32_e32 v4, 16, v1
	v_mov_b32_e32 v67, 0
	v_lshl_add_u32 v68, s2, 1, v4
	v_mov_b32_e32 v69, v67
	s_waitcnt lgkmcnt(0)
	v_cmp_gt_u64_e32 vcc, s[8:9], v[68:69]
	s_and_saveexec_b64 s[2:3], vcc
	s_cbranch_execz .LBB0_31
; %bb.1:
	s_load_dwordx4 s[4:7], s[0:1], 0x18
	s_load_dwordx2 s[16:17], s[0:1], 0x0
	v_mul_lo_u16_e32 v1, 0x6c, v4
	v_sub_u16_e32 v66, v0, v1
	v_mov_b32_e32 v2, s10
	s_waitcnt lgkmcnt(0)
	s_load_dwordx4 s[12:15], s[4:5], 0x0
	v_mov_b32_e32 v3, s11
	v_lshlrev_b32_e32 v84, 3, v66
	v_mov_b32_e32 v85, v67
	v_lshl_add_u64 v[64:65], s[16:17], 0, v[84:85]
	s_waitcnt lgkmcnt(0)
	v_mad_u64_u32 v[0:1], s[2:3], s14, v68, 0
	v_mov_b32_e32 v6, v1
	v_mad_u64_u32 v[6:7], s[2:3], s15, v68, v[6:7]
	v_mov_b32_e32 v1, v6
	;; [unrolled: 2-line block ×3, first 2 shown]
	v_mad_u64_u32 v[8:9], s[2:3], s13, v66, v[8:9]
	s_mul_i32 s2, s13, 0xb4
	s_mul_hi_u32 s3, s12, 0xb4
	v_mov_b32_e32 v7, v8
	v_lshl_add_u64 v[0:1], v[0:1], 3, v[2:3]
	s_add_i32 s3, s3, s2
	s_mul_i32 s2, s12, 0xb4
	v_lshl_add_u64 v[0:1], v[6:7], 3, v[0:1]
	s_lshl_b64 s[2:3], s[2:3], 3
	global_load_dwordx2 v[6:7], v[0:1], off
	v_lshl_add_u64 v[0:1], v[0:1], 0, s[2:3]
	global_load_dwordx2 v[80:81], v84, s[16:17]
	s_movk_i32 s4, 0x1000
	v_lshl_add_u64 v[2:3], v[0:1], 0, s[2:3]
	global_load_dwordx2 v[78:79], v84, s[16:17] offset:1440
	global_load_dwordx2 v[74:75], v84, s[16:17] offset:2880
	global_load_dwordx2 v[8:9], v[0:1], off
	v_add_co_u32_e32 v0, vcc, s4, v64
	v_lshl_add_u64 v[10:11], v[2:3], 0, s[2:3]
	s_nop 0
	v_addc_co_u32_e32 v1, vcc, 0, v65, vcc
	global_load_dwordx2 v[12:13], v[2:3], off
	global_load_dwordx2 v[14:15], v[10:11], off
	global_load_dwordx2 v[76:77], v[0:1], off offset:224
	v_lshl_add_u64 v[2:3], v[10:11], 0, s[2:3]
	global_load_dwordx2 v[10:11], v[2:3], off
	global_load_dwordx2 v[72:73], v[0:1], off offset:1664
	v_lshl_add_u64 v[2:3], v[2:3], 0, s[2:3]
	global_load_dwordx2 v[70:71], v[0:1], off offset:3104
	global_load_dwordx2 v[16:17], v[2:3], off
	v_and_b32_e32 v4, 1, v4
	v_mov_b32_e32 v5, 0x438
	v_cmp_eq_u32_e32 vcc, 1, v4
	s_load_dwordx2 s[14:15], s[0:1], 0x38
	s_load_dwordx4 s[8:11], s[6:7], 0x0
	v_cndmask_b32_e32 v85, 0, v5, vcc
	v_lshlrev_b32_e32 v122, 3, v85
	v_add_u32_e32 v69, v122, v84
	v_add_u32_e32 v4, 0xa00, v69
	s_movk_i32 s4, 0x48
	v_add_u32_e32 v5, 0x1600, v69
	v_cmp_gt_u16_e64 s[4:5], s4, v66
	s_waitcnt vmcnt(10)
	v_mul_f32_e32 v18, v7, v81
	v_mul_f32_e32 v19, v6, v81
	v_fmac_f32_e32 v18, v6, v80
	v_fma_f32 v19, v7, v80, -v19
	s_waitcnt vmcnt(7)
	v_mul_f32_e32 v6, v9, v79
	v_mul_f32_e32 v7, v8, v79
	v_fmac_f32_e32 v6, v8, v78
	v_fma_f32 v7, v9, v78, -v7
	s_waitcnt vmcnt(6)
	v_mul_f32_e32 v8, v13, v75
	v_mul_f32_e32 v9, v12, v75
	ds_write2_b64 v69, v[18:19], v[6:7] offset1:180
	s_waitcnt vmcnt(4)
	v_mul_f32_e32 v6, v15, v77
	v_mul_f32_e32 v7, v14, v77
	v_fmac_f32_e32 v8, v12, v74
	v_fma_f32 v9, v13, v74, -v9
	v_fmac_f32_e32 v6, v14, v76
	v_fma_f32 v7, v15, v76, -v7
	s_waitcnt vmcnt(2)
	v_mul_f32_e32 v12, v11, v73
	v_mul_f32_e32 v13, v10, v73
	ds_write2_b64 v4, v[8:9], v[6:7] offset0:40 offset1:220
	s_waitcnt vmcnt(0)
	v_mul_f32_e32 v6, v17, v71
	v_mul_f32_e32 v7, v16, v71
	v_fmac_f32_e32 v12, v10, v72
	v_fma_f32 v13, v11, v72, -v13
	v_fmac_f32_e32 v6, v16, v70
	v_fma_f32 v7, v17, v70, -v7
	ds_write2_b64 v5, v[12:13], v[6:7] offset0:16 offset1:196
	s_and_saveexec_b64 s[6:7], s[4:5]
	s_cbranch_execz .LBB0_3
; %bb.2:
	v_mov_b32_e32 v6, 0xffffe740
	s_mulk_i32 s13, 0xe740
	v_mad_u64_u32 v[2:3], s[18:19], s12, v6, v[2:3]
	s_sub_i32 s12, s13, s12
	v_add_u32_e32 v3, s12, v3
	global_load_dwordx2 v[6:7], v[2:3], off
	global_load_dwordx2 v[8:9], v[64:65], off offset:864
	v_lshl_add_u64 v[2:3], v[2:3], 0, s[2:3]
	global_load_dwordx2 v[10:11], v[2:3], off
	global_load_dwordx2 v[12:13], v[64:65], off offset:2304
	v_lshl_add_u64 v[2:3], v[2:3], 0, s[2:3]
	global_load_dwordx2 v[14:15], v[2:3], off
	global_load_dwordx2 v[16:17], v[64:65], off offset:3744
	global_load_dwordx2 v[18:19], v[0:1], off offset:1088
	v_lshl_add_u64 v[2:3], v[2:3], 0, s[2:3]
	global_load_dwordx2 v[20:21], v[2:3], off
	v_lshl_add_u64 v[2:3], v[2:3], 0, s[2:3]
	global_load_dwordx2 v[22:23], v[2:3], off
	global_load_dwordx2 v[24:25], v[0:1], off offset:2528
	global_load_dwordx2 v[26:27], v[0:1], off offset:3968
	v_lshl_add_u64 v[0:1], v[2:3], 0, s[2:3]
	global_load_dwordx2 v[0:1], v[0:1], off
	v_add_u32_e32 v28, 0x200, v69
	v_add_u32_e32 v29, 0xe00, v69
	s_waitcnt vmcnt(10)
	v_mul_f32_e32 v2, v7, v9
	v_mul_f32_e32 v3, v6, v9
	v_fmac_f32_e32 v2, v6, v8
	v_fma_f32 v3, v7, v8, -v3
	s_waitcnt vmcnt(8)
	v_mul_f32_e32 v6, v11, v13
	v_mul_f32_e32 v7, v10, v13
	v_fmac_f32_e32 v6, v10, v12
	v_fma_f32 v7, v11, v12, -v7
	s_waitcnt vmcnt(6)
	v_mul_f32_e32 v8, v15, v17
	v_mul_f32_e32 v9, v14, v17
	ds_write2_b64 v28, v[2:3], v[6:7] offset0:44 offset1:224
	s_waitcnt vmcnt(4)
	v_mul_f32_e32 v2, v21, v19
	v_mul_f32_e32 v3, v20, v19
	v_fmac_f32_e32 v8, v14, v16
	v_fma_f32 v9, v15, v16, -v9
	v_fmac_f32_e32 v2, v20, v18
	v_fma_f32 v3, v21, v18, -v3
	s_waitcnt vmcnt(2)
	v_mul_f32_e32 v6, v23, v25
	v_mul_f32_e32 v7, v22, v25
	ds_write2_b64 v29, v[8:9], v[2:3] offset0:20 offset1:200
	s_waitcnt vmcnt(0)
	v_mul_f32_e32 v2, v1, v27
	v_mul_f32_e32 v3, v0, v27
	v_fmac_f32_e32 v6, v22, v24
	v_fma_f32 v7, v23, v24, -v7
	v_fmac_f32_e32 v2, v0, v26
	v_fma_f32 v3, v1, v26, -v3
	v_add_u32_e32 v0, 0x1800, v69
	ds_write2_b64 v0, v[6:7], v[2:3] offset0:60 offset1:240
.LBB0_3:
	s_or_b64 exec, exec, s[6:7]
	s_waitcnt lgkmcnt(0)
	s_barrier
	ds_read2_b64 v[12:15], v69 offset1:180
	ds_read2_b64 v[16:19], v4 offset0:40 offset1:220
	ds_read2_b64 v[20:23], v5 offset0:16 offset1:196
	s_load_dwordx2 s[0:1], s[0:1], 0x8
                                        ; implicit-def: $vgpr0
                                        ; implicit-def: $vgpr4
                                        ; implicit-def: $vgpr8
	s_and_saveexec_b64 s[2:3], s[4:5]
	s_cbranch_execz .LBB0_5
; %bb.4:
	v_add_u32_e32 v0, 0x200, v69
	v_add_u32_e32 v4, 0xe00, v69
	v_add_u32_e32 v8, 0x1800, v69
	ds_read2_b64 v[0:3], v0 offset0:44 offset1:224
	ds_read2_b64 v[4:7], v4 offset0:20 offset1:200
	ds_read2_b64 v[8:11], v8 offset0:60 offset1:240
.LBB0_5:
	s_or_b64 exec, exec, s[2:3]
	s_mov_b64 s[2:3], 0x6c
	v_lshl_add_u64 v[90:91], v[66:67], 0, s[2:3]
	s_waitcnt lgkmcnt(0)
	v_pk_add_f32 v[24:25], v[4:5], v[8:9]
	v_pk_add_f32 v[26:27], v[4:5], v[8:9] neg_lo:[0,1] neg_hi:[0,1]
	v_pk_add_f32 v[28:29], v[6:7], v[10:11]
	v_pk_add_f32 v[30:31], v[6:7], v[10:11] neg_lo:[0,1] neg_hi:[0,1]
	s_mov_b32 s2, 0x3f5db3d7
	v_pk_fma_f32 v[24:25], v[24:25], 0.5, v[0:1] op_sel_hi:[1,0,1] neg_lo:[1,0,0] neg_hi:[1,0,0]
	v_pk_mul_f32 v[26:27], v[26:27], s[2:3] op_sel_hi:[1,0]
	v_pk_fma_f32 v[28:29], v[28:29], 0.5, v[2:3] op_sel_hi:[1,0,1] neg_lo:[1,0,0] neg_hi:[1,0,0]
	v_pk_mul_f32 v[30:31], v[30:31], s[2:3] op_sel_hi:[1,0]
	v_pk_add_f32 v[32:33], v[24:25], v[26:27] op_sel:[0,1] op_sel_hi:[1,0]
	v_pk_add_f32 v[24:25], v[24:25], v[26:27] op_sel:[0,1] op_sel_hi:[1,0] neg_lo:[0,1] neg_hi:[0,1]
	v_pk_add_f32 v[34:35], v[28:29], v[30:31] op_sel:[0,1] op_sel_hi:[1,0]
	s_mov_b32 s6, 0.5
	s_mov_b32 s7, s2
	v_mov_b32_e32 v26, v32
	v_mov_b32_e32 v27, v25
	v_pk_add_f32 v[28:29], v[28:29], v[30:31] op_sel:[0,1] op_sel_hi:[1,0] neg_lo:[0,1] neg_hi:[0,1]
	v_mov_b32_e32 v25, v33
	v_pk_mul_f32 v[32:33], v[34:35], s[6:7] op_sel_hi:[0,1]
	s_mov_b32 s3, s6
	v_pk_add_f32 v[38:39], v[14:15], v[18:19]
	v_mov_b32_e32 v40, v35
	v_mov_b32_e32 v41, v28
	v_pk_fma_f32 v[30:31], v[28:29], s[2:3], v[32:33] op_sel:[1,0,0]
	v_pk_fma_f32 v[28:29], v[28:29], s[2:3], v[32:33] op_sel:[1,0,0] neg_lo:[0,0,1] neg_hi:[0,0,1]
	v_pk_add_f32 v[36:37], v[12:13], v[16:17]
	v_mov_b32_e32 v31, v29
	s_mov_b32 s13, 0xbf5db3d7
	s_mov_b32 s12, s2
	v_pk_mul_f32 v[28:29], v[40:41], 0.5 op_sel_hi:[1,0]
	v_pk_add_f32 v[42:43], v[38:39], v[22:23]
	v_pk_add_f32 v[38:39], v[16:17], v[20:21]
	v_pk_add_f32 v[16:17], v[16:17], v[20:21] neg_lo:[0,1] neg_hi:[0,1]
	v_pk_fma_f32 v[28:29], v[40:41], s[12:13], v[28:29] op_sel:[0,0,1] op_sel_hi:[1,1,0] neg_lo:[0,0,1] neg_hi:[0,0,1]
	v_mul_lo_u16_e32 v40, 6, v66
	v_pk_fma_f32 v[12:13], v[38:39], 0.5, v[12:13] op_sel_hi:[1,0,1] neg_lo:[1,0,0] neg_hi:[1,0,0]
	v_pk_mul_f32 v[16:17], v[16:17], s[2:3] op_sel_hi:[1,0]
	v_lshl_add_u32 v124, v40, 3, v122
	v_pk_add_f32 v[40:41], v[36:37], v[20:21]
	v_pk_add_f32 v[20:21], v[12:13], v[16:17] op_sel:[0,1] op_sel_hi:[1,0]
	v_pk_add_f32 v[16:17], v[12:13], v[16:17] op_sel:[0,1] op_sel_hi:[1,0] neg_lo:[0,1] neg_hi:[0,1]
	v_pk_add_f32 v[12:13], v[18:19], v[22:23]
	v_mov_b32_e32 v45, v17
	v_pk_fma_f32 v[12:13], v[12:13], 0.5, v[14:15] op_sel_hi:[1,0,1] neg_lo:[1,0,0] neg_hi:[1,0,0]
	v_pk_add_f32 v[14:15], v[18:19], v[22:23] neg_lo:[0,1] neg_hi:[0,1]
	v_mov_b32_e32 v17, v21
	v_pk_fma_f32 v[18:19], v[14:15], s[2:3], v[12:13] op_sel:[0,0,1] op_sel_hi:[1,0,0]
	v_pk_fma_f32 v[12:13], v[14:15], s[2:3], v[12:13] op_sel:[0,0,1] op_sel_hi:[1,0,0] neg_lo:[1,0,0] neg_hi:[1,0,0]
	v_mov_b32_e32 v14, v18
	v_mov_b32_e32 v15, v13
	v_pk_mul_f32 v[22:23], v[14:15], 0.5 op_sel_hi:[1,0]
	v_mov_b32_e32 v44, v20
	v_pk_fma_f32 v[22:23], v[14:15], s[12:13], v[22:23] op_sel:[0,0,1] op_sel_hi:[1,1,0] neg_lo:[0,0,1] neg_hi:[0,0,1]
	v_pk_mul_f32 v[14:15], v[18:19], s[6:7] op_sel:[1,0]
	v_pk_add_f32 v[32:33], v[26:27], v[30:31] neg_lo:[0,1] neg_hi:[0,1]
	v_pk_fma_f32 v[18:19], v[12:13], s[2:3], v[14:15]
	v_pk_fma_f32 v[12:13], v[12:13], s[2:3], v[14:15] op_sel_hi:[0,1,1] neg_lo:[0,0,1] neg_hi:[0,0,1]
	v_mov_b32_e32 v19, v13
	v_pk_add_f32 v[12:13], v[16:17], v[22:23]
	v_pk_add_f32 v[14:15], v[40:41], v[42:43] neg_lo:[0,1] neg_hi:[0,1]
	v_pk_add_f32 v[34:35], v[24:25], v[28:29] neg_lo:[0,1] neg_hi:[0,1]
	s_barrier
	v_pk_add_f32 v[36:37], v[40:41], v[42:43]
	v_pk_add_f32 v[38:39], v[44:45], v[18:19]
	ds_write_b128 v124, v[12:15] offset:16
	v_pk_add_f32 v[12:13], v[44:45], v[18:19] neg_lo:[0,1] neg_hi:[0,1]
	v_pk_add_f32 v[14:15], v[16:17], v[22:23] neg_lo:[0,1] neg_hi:[0,1]
	v_mul_u32_u24_e32 v126, 6, v90
	ds_write_b128 v124, v[36:39]
	ds_write_b128 v124, v[12:15] offset:32
	s_and_saveexec_b64 s[2:3], s[4:5]
	s_cbranch_execz .LBB0_7
; %bb.6:
	v_pk_add_f32 v[0:1], v[0:1], v[4:5]
	v_lshl_add_u32 v12, v126, 3, v122
	v_pk_add_f32 v[4:5], v[0:1], v[8:9]
	v_pk_add_f32 v[0:1], v[2:3], v[6:7]
	;; [unrolled: 1-line block ×4, first 2 shown]
	s_nop 0
	v_pk_add_f32 v[0:1], v[4:5], v[6:7]
	ds_write_b128 v12, v[0:3]
	v_pk_add_f32 v[0:1], v[24:25], v[28:29]
	v_pk_add_f32 v[2:3], v[4:5], v[6:7] neg_lo:[0,1] neg_hi:[0,1]
	ds_write_b128 v12, v[0:3] offset:16
	ds_write_b128 v12, v[32:35] offset:32
.LBB0_7:
	s_or_b64 exec, exec, s[2:3]
	s_movk_i32 s2, 0xab
	v_mul_lo_u16_sdwa v0, v66, s2 dst_sel:DWORD dst_unused:UNUSED_PAD src0_sel:BYTE_0 src1_sel:DWORD
	v_lshrrev_b16_e32 v21, 10, v0
	v_mul_lo_u16_e32 v0, 6, v21
	v_sub_u16_e32 v0, v66, v0
	v_and_b32_e32 v91, 0xff, v0
	s_movk_i32 s2, 0x48
	v_mov_b64_e32 v[0:1], s[0:1]
	v_mad_u64_u32 v[16:17], s[2:3], v91, s2, v[0:1]
	s_waitcnt lgkmcnt(0)
	s_barrier
	global_load_dwordx4 v[12:15], v[16:17], off
	global_load_dwordx4 v[8:11], v[16:17], off offset:16
	global_load_dwordx4 v[4:7], v[16:17], off offset:32
	;; [unrolled: 1-line block ×3, first 2 shown]
	global_load_dwordx2 v[82:83], v[16:17], off offset:64
	v_add_u32_e32 v22, 0x400, v69
	v_add_u32_e32 v26, 0xc00, v69
	;; [unrolled: 1-line block ×4, first 2 shown]
	ds_read2_b64 v[16:19], v69 offset1:108
	ds_read2_b64 v[22:25], v22 offset0:88 offset1:196
	ds_read2_b64 v[26:29], v26 offset0:48 offset1:156
	;; [unrolled: 1-line block ×4, first 2 shown]
	s_mov_b32 s6, 0x3f737871
	s_mov_b32 s2, 0x3f167918
	;; [unrolled: 1-line block ×6, first 2 shown]
	v_mul_u32_u24_e32 v21, 60, v21
	v_add_u32_e32 v21, v21, v91
	v_lshl_add_u32 v127, v21, 3, v122
	s_waitcnt lgkmcnt(0)
	s_barrier
	s_waitcnt vmcnt(4)
	v_mov_b32_e32 v30, v15
	s_waitcnt vmcnt(3)
	v_mov_b32_e32 v44, v11
	;; [unrolled: 2-line block ×4, first 2 shown]
	v_pk_mul_f32 v[52:53], v[24:25], v[8:9] op_sel:[0,1]
	v_pk_mul_f32 v[54:55], v[28:29], v[4:5] op_sel:[0,1]
	;; [unrolled: 1-line block ×3, first 2 shown]
	s_waitcnt vmcnt(0)
	v_pk_mul_f32 v[58:59], v[42:43], v[82:83] op_sel:[0,1]
	v_pk_mul_f32 v[30:31], v[22:23], v[30:31] op_sel_hi:[1,0]
	v_pk_mul_f32 v[44:45], v[26:27], v[44:45] op_sel_hi:[1,0]
	;; [unrolled: 1-line block ×4, first 2 shown]
	v_pk_fma_f32 v[60:61], v[24:25], v[8:9], v[52:53] op_sel:[0,0,1] op_sel_hi:[1,1,0] neg_lo:[0,0,1] neg_hi:[0,0,1]
	v_pk_fma_f32 v[24:25], v[24:25], v[8:9], v[52:53] op_sel:[0,0,1] op_sel_hi:[1,0,0]
	v_pk_fma_f32 v[62:63], v[28:29], v[4:5], v[54:55] op_sel:[0,0,1] op_sel_hi:[1,1,0] neg_lo:[0,0,1] neg_hi:[0,0,1]
	v_pk_fma_f32 v[28:29], v[28:29], v[4:5], v[54:55] op_sel:[0,0,1] op_sel_hi:[1,0,0]
	;; [unrolled: 2-line block ×4, first 2 shown]
	v_pk_mul_f32 v[50:51], v[18:19], v[12:13] op_sel:[0,1]
	v_pk_fma_f32 v[52:53], v[22:23], v[14:15], v[30:31] op_sel:[0,0,1] op_sel_hi:[1,1,0] neg_lo:[0,0,1] neg_hi:[0,0,1]
	v_pk_fma_f32 v[22:23], v[22:23], v[14:15], v[30:31] op_sel:[0,0,1] op_sel_hi:[1,0,0]
	v_pk_fma_f32 v[30:31], v[26:27], v[10:11], v[44:45] op_sel:[0,0,1] op_sel_hi:[1,1,0] neg_lo:[0,0,1] neg_hi:[0,0,1]
	v_pk_fma_f32 v[26:27], v[26:27], v[10:11], v[44:45] op_sel:[0,0,1] op_sel_hi:[1,0,0]
	;; [unrolled: 2-line block ×4, first 2 shown]
	v_mov_b32_e32 v61, v25
	v_mov_b32_e32 v63, v29
	;; [unrolled: 1-line block ×4, first 2 shown]
	v_pk_fma_f32 v[58:59], v[18:19], v[12:13], v[50:51] op_sel:[0,0,1] op_sel_hi:[1,1,0] neg_lo:[0,0,1] neg_hi:[0,0,1]
	v_pk_fma_f32 v[18:19], v[18:19], v[12:13], v[50:51] op_sel:[0,0,1] op_sel_hi:[1,0,0]
	v_mov_b32_e32 v53, v23
	v_mov_b32_e32 v31, v27
	;; [unrolled: 1-line block ×4, first 2 shown]
	v_pk_add_f32 v[24:25], v[62:63], v[60:61] neg_lo:[0,1] neg_hi:[0,1]
	v_pk_add_f32 v[26:27], v[86:87], v[56:57] neg_lo:[0,1] neg_hi:[0,1]
	v_mov_b32_e32 v18, v29
	v_pk_add_f32 v[28:29], v[30:31], v[44:45]
	v_pk_add_f32 v[24:25], v[24:25], v[26:27]
	;; [unrolled: 1-line block ×3, first 2 shown]
	v_mov_b32_e32 v22, v39
	v_pk_add_f32 v[36:37], v[52:53], v[46:47] neg_lo:[0,1] neg_hi:[0,1]
	v_pk_add_f32 v[38:39], v[30:31], v[44:45] neg_lo:[0,1] neg_hi:[0,1]
	;; [unrolled: 1-line block ×6, first 2 shown]
	v_pk_fma_f32 v[28:29], v[28:29], 0.5, v[16:17] op_sel_hi:[1,0,1] neg_lo:[1,0,0] neg_hi:[1,0,0]
	v_pk_fma_f32 v[26:27], v[26:27], 0.5, v[16:17] op_sel_hi:[1,0,1] neg_lo:[1,0,0] neg_hi:[1,0,0]
	v_mov_b32_e32 v59, v19
	v_mov_b32_e32 v19, v62
	v_pk_add_f32 v[40:41], v[40:41], v[42:43]
	v_pk_add_f32 v[42:43], v[48:49], v[50:51]
	v_pk_fma_f32 v[48:49], v[36:37], s[6:7], v[28:29] op_sel:[1,0,0] op_sel_hi:[0,0,1]
	v_pk_fma_f32 v[28:29], v[36:37], s[6:7], v[28:29] op_sel:[1,0,0] op_sel_hi:[0,0,1] neg_lo:[1,0,0] neg_hi:[1,0,0]
	v_pk_fma_f32 v[50:51], v[38:39], s[6:7], v[26:27] op_sel:[1,0,0] op_sel_hi:[0,0,1] neg_lo:[1,0,0] neg_hi:[1,0,0]
	v_pk_fma_f32 v[26:27], v[38:39], s[6:7], v[26:27] op_sel:[1,0,0] op_sel_hi:[0,0,1]
	v_mov_b32_e32 v23, v86
	v_pk_fma_f32 v[28:29], v[38:39], s[2:3], v[28:29] op_sel:[1,0,0] op_sel_hi:[0,0,1] neg_lo:[1,0,0] neg_hi:[1,0,0]
	v_pk_fma_f32 v[38:39], v[38:39], s[2:3], v[48:49] op_sel:[1,0,0] op_sel_hi:[0,0,1]
	v_pk_fma_f32 v[26:27], v[36:37], s[2:3], v[26:27] op_sel:[1,0,0] op_sel_hi:[0,0,1] neg_lo:[1,0,0] neg_hi:[1,0,0]
	v_pk_fma_f32 v[36:37], v[36:37], s[2:3], v[50:51] op_sel:[1,0,0] op_sel_hi:[0,0,1]
	v_pk_add_f32 v[18:19], v[18:19], v[22:23] neg_lo:[0,1] neg_hi:[0,1]
	v_pk_add_f32 v[22:23], v[60:61], v[62:63] neg_lo:[0,1] neg_hi:[0,1]
	;; [unrolled: 1-line block ×3, first 2 shown]
	v_pk_add_f32 v[50:51], v[62:63], v[86:87]
	v_pk_add_f32 v[22:23], v[22:23], v[48:49]
	;; [unrolled: 1-line block ×3, first 2 shown]
	v_pk_fma_f32 v[50:51], v[50:51], 0.5, v[58:59] op_sel_hi:[1,0,1] neg_lo:[1,0,0] neg_hi:[1,0,0]
	v_pk_add_f32 v[54:55], v[60:61], v[56:57] neg_lo:[0,1] neg_hi:[0,1]
	v_pk_fma_f32 v[48:49], v[48:49], 0.5, v[58:59] op_sel_hi:[1,0,1] neg_lo:[1,0,0] neg_hi:[1,0,0]
	v_pk_fma_f32 v[88:89], v[54:55], s[6:7], v[50:51] op_sel:[1,0,0] op_sel_hi:[0,0,1]
	v_pk_fma_f32 v[50:51], v[54:55], s[6:7], v[50:51] op_sel:[1,0,0] op_sel_hi:[0,0,1] neg_lo:[1,0,0] neg_hi:[1,0,0]
	v_pk_fma_f32 v[50:51], v[18:19], s[2:3], v[50:51] op_sel_hi:[1,0,1] neg_lo:[1,0,0] neg_hi:[1,0,0]
	v_pk_fma_f32 v[88:89], v[18:19], s[2:3], v[88:89] op_sel_hi:[1,0,1]
	v_pk_fma_f32 v[92:93], v[18:19], s[6:7], v[48:49] op_sel_hi:[1,0,1] neg_lo:[1,0,0] neg_hi:[1,0,0]
	v_pk_fma_f32 v[18:19], v[18:19], s[6:7], v[48:49] op_sel_hi:[1,0,1]
	v_pk_fma_f32 v[48:49], v[54:55], s[2:3], v[92:93] op_sel:[1,0,0] op_sel_hi:[0,0,1]
	v_pk_fma_f32 v[18:19], v[54:55], s[2:3], v[18:19] op_sel:[1,0,0] op_sel_hi:[0,0,1] neg_lo:[1,0,0] neg_hi:[1,0,0]
	v_mov_b32_e32 v54, v88
	v_mov_b32_e32 v55, v51
	v_pk_fma_f32 v[54:55], v[22:23], s[12:13], v[54:55] op_sel_hi:[1,0,1]
	v_pk_add_f32 v[16:17], v[16:17], v[52:53]
	v_pk_mul_f32 v[92:93], v[54:55], s[2:3] op_sel_hi:[1,0]
	v_pk_add_f32 v[16:17], v[16:17], v[30:31]
	v_pk_fma_f32 v[94:95], v[54:55], s[18:19], v[92:93] op_sel:[0,0,1] op_sel_hi:[1,0,0]
	v_pk_fma_f32 v[54:55], v[54:55], s[18:19], v[92:93] op_sel:[0,0,1] op_sel_hi:[1,0,0] neg_lo:[0,0,1] neg_hi:[0,0,1]
	v_pk_add_f32 v[30:31], v[58:59], v[60:61]
	v_mov_b32_e32 v95, v55
	v_mov_b32_e32 v54, v48
	;; [unrolled: 1-line block ×4, first 2 shown]
	v_pk_fma_f32 v[54:55], v[24:25], s[12:13], v[54:55] op_sel_hi:[1,0,1]
	v_pk_fma_f32 v[18:19], v[24:25], s[12:13], v[18:19] op_sel_hi:[1,0,1]
	v_pk_mul_f32 v[92:93], v[54:55], s[6:7] op_sel_hi:[1,0]
	v_pk_mul_f32 v[24:25], v[18:19], s[12:13] op_sel_hi:[1,0]
	v_mov_b32_e32 v51, v89
	v_pk_add_f32 v[30:31], v[30:31], v[62:63]
	v_pk_fma_f32 v[96:97], v[54:55], s[12:13], v[92:93] op_sel:[0,0,1] op_sel_hi:[1,0,0]
	v_pk_fma_f32 v[54:55], v[54:55], s[12:13], v[92:93] op_sel:[0,0,1] op_sel_hi:[1,0,0] neg_lo:[0,0,1] neg_hi:[0,0,1]
	v_pk_fma_f32 v[18:19], v[18:19], s[20:21], v[24:25] op_sel:[0,0,1] op_sel_hi:[1,1,0] neg_lo:[0,0,1] neg_hi:[0,0,1]
	v_mov_b32_e32 v24, v38
	v_mov_b32_e32 v25, v29
	v_pk_fma_f32 v[22:23], v[22:23], s[12:13], v[50:51] op_sel_hi:[1,0,1]
	v_pk_add_f32 v[16:17], v[16:17], v[44:45]
	v_pk_add_f32 v[30:31], v[30:31], v[86:87]
	v_mov_b32_e32 v97, v55
	v_mov_b32_e32 v54, v36
	;; [unrolled: 1-line block ×5, first 2 shown]
	v_pk_fma_f32 v[24:25], v[40:41], s[12:13], v[24:25] op_sel_hi:[1,0,1]
	s_mov_b32 s6, 0xbf167918
	s_mov_b32 s7, s2
	v_pk_mul_f32 v[38:39], v[22:23], s[18:19] op_sel_hi:[1,0]
	v_pk_add_f32 v[16:17], v[16:17], v[46:47]
	v_pk_add_f32 v[30:31], v[30:31], v[56:57]
	v_pk_fma_f32 v[36:37], v[42:43], s[12:13], v[54:55] op_sel_hi:[1,0,1]
	v_pk_fma_f32 v[26:27], v[42:43], s[12:13], v[26:27] op_sel_hi:[1,0,1]
	v_pk_fma_f32 v[22:23], v[22:23], s[6:7], v[38:39] op_sel:[0,0,1] op_sel_hi:[1,1,0] neg_lo:[0,0,1] neg_hi:[0,0,1]
	v_pk_add_f32 v[48:49], v[24:25], v[94:95] neg_lo:[0,1] neg_hi:[0,1]
	v_pk_add_f32 v[38:39], v[16:17], v[30:31]
	v_pk_add_f32 v[24:25], v[24:25], v[94:95]
	v_pk_fma_f32 v[28:29], v[40:41], s[12:13], v[28:29] op_sel_hi:[1,0,1]
	v_pk_add_f32 v[52:53], v[26:27], v[18:19] op_sel:[0,1] op_sel_hi:[1,0] neg_lo:[0,1] neg_hi:[0,1]
	ds_write2_b64 v127, v[38:39], v[24:25] offset1:6
	v_pk_add_f32 v[24:25], v[36:37], v[96:97]
	v_pk_add_f32 v[18:19], v[26:27], v[18:19] op_sel:[0,1] op_sel_hi:[1,0]
	ds_write2_b64 v127, v[24:25], v[18:19] offset0:12 offset1:18
	v_pk_add_f32 v[18:19], v[28:29], v[22:23] op_sel:[0,1] op_sel_hi:[1,0]
	v_pk_add_f32 v[16:17], v[16:17], v[30:31] neg_lo:[0,1] neg_hi:[0,1]
	v_pk_add_f32 v[50:51], v[36:37], v[96:97] neg_lo:[0,1] neg_hi:[0,1]
	v_pk_add_f32 v[54:55], v[28:29], v[22:23] op_sel:[0,1] op_sel_hi:[1,0] neg_lo:[0,1] neg_hi:[0,1]
	ds_write2_b64 v127, v[18:19], v[16:17] offset0:24 offset1:30
	ds_write2_b64 v127, v[48:49], v[50:51] offset0:36 offset1:42
	;; [unrolled: 1-line block ×3, first 2 shown]
	v_add_u32_e32 v16, 0xa00, v69
	s_waitcnt lgkmcnt(0)
	s_barrier
	ds_read2_b64 v[44:47], v16 offset0:40 offset1:220
	v_add_u32_e32 v16, 0x1600, v69
	ds_read2_b64 v[36:39], v69 offset1:180
	ds_read2_b64 v[40:43], v16 offset0:16 offset1:196
	s_and_saveexec_b64 s[2:3], s[4:5]
	s_cbranch_execz .LBB0_9
; %bb.8:
	v_add_u32_e32 v16, 0x200, v69
	ds_read2_b64 v[48:51], v16 offset0:44 offset1:224
	v_add_u32_e32 v16, 0xe00, v69
	ds_read2_b64 v[52:55], v16 offset0:20 offset1:200
	ds_read2_b64 v[32:35], v20 offset0:60 offset1:240
.LBB0_9:
	s_or_b64 exec, exec, s[2:3]
	s_movk_i32 s2, 0x89
	v_mul_lo_u16_sdwa v16, v90, s2 dst_sel:DWORD dst_unused:UNUSED_PAD src0_sel:BYTE_0 src1_sel:DWORD
	v_lshrrev_b16_e32 v123, 13, v16
	v_mul_lo_u16_e32 v16, 60, v123
	v_sub_u16_e32 v16, v90, v16
	v_and_b32_e32 v125, 0xff, v16
	v_mad_u64_u32 v[24:25], s[2:3], v125, 40, s[0:1]
	global_load_dwordx4 v[20:23], v[24:25], off offset:432
	global_load_dwordx4 v[16:19], v[24:25], off offset:448
	global_load_dwordx2 v[86:87], v[24:25], off offset:464
	v_subrev_u32_e32 v24, 60, v66
	v_cmp_gt_u16_e32 vcc, 60, v66
	v_mov_b32_e32 v101, 0x168
	s_waitcnt lgkmcnt(2)
	v_mov_b32_e32 v58, v51
	v_cndmask_b32_e32 v91, v24, v66, vcc
	v_mul_hi_i32_i24_e32 v25, 40, v91
	v_mul_i32_i24_e32 v24, 40, v91
	v_lshl_add_u64 v[56:57], s[0:1], 0, v[24:25]
	global_load_dwordx2 v[88:89], v[56:57], off offset:464
	global_load_dwordx4 v[24:27], v[56:57], off offset:448
	global_load_dwordx4 v[28:31], v[56:57], off offset:432
	s_waitcnt lgkmcnt(1)
	v_mov_b32_e32 v60, v55
	s_waitcnt lgkmcnt(0)
	v_mov_b32_e32 v56, v35
	s_mov_b32 s2, 0x3f5db3d7
	s_mov_b32 s12, 0.5
	s_mov_b32 s13, s2
	v_cmp_lt_u16_e32 vcc, 59, v66
	s_mov_b32 s6, 0xbf5db3d7
	s_barrier
	s_waitcnt vmcnt(5)
	v_pk_mul_f32 v[62:63], v[50:51], v[20:21]
	s_waitcnt vmcnt(4)
	v_pk_mul_f32 v[92:93], v[54:55], v[16:17]
	;; [unrolled: 2-line block ×3, first 2 shown]
	v_mov_b32_e32 v62, v21
	v_mov_b32_e32 v92, v17
	;; [unrolled: 1-line block ×3, first 2 shown]
	v_pk_mul_f32 v[96:97], v[52:53], v[22:23] op_sel:[1,0]
	v_pk_mul_f32 v[98:99], v[32:33], v[18:19] op_sel:[1,0]
	v_mov_b32_e32 v100, v63
	v_mov_b32_e32 v102, v93
	v_pk_mul_f32 v[62:63], v[50:51], v[62:63]
	v_pk_mul_f32 v[92:93], v[54:55], v[92:93]
	v_mov_b32_e32 v104, v95
	v_pk_mul_f32 v[94:95], v[34:35], v[94:95]
	v_pk_fma_f32 v[106:107], v[52:53], v[22:23], v[96:97] op_sel:[0,0,1] op_sel_hi:[1,1,0] neg_lo:[0,0,1] neg_hi:[0,0,1]
	v_pk_fma_f32 v[52:53], v[52:53], v[22:23], v[96:97] op_sel:[0,0,1] op_sel_hi:[0,1,0]
	v_pk_fma_f32 v[96:97], v[32:33], v[18:19], v[98:99] op_sel:[0,0,1] op_sel_hi:[1,1,0] neg_lo:[0,0,1] neg_hi:[0,0,1]
	v_pk_fma_f32 v[32:33], v[32:33], v[18:19], v[98:99] op_sel:[0,0,1] op_sel_hi:[0,1,0]
	v_pk_fma_f32 v[98:99], v[50:51], v[20:21], v[100:101] neg_lo:[0,0,1] neg_hi:[0,0,1]
	v_pk_fma_f32 v[50:51], v[54:55], v[16:17], v[102:103] neg_lo:[0,0,1] neg_hi:[0,0,1]
	v_pk_mul_f32 v[58:59], v[58:59], v[20:21]
	v_pk_fma_f32 v[54:55], v[60:61], v[16:17], v[92:93]
	v_pk_fma_f32 v[60:61], v[34:35], v[86:87], v[104:105] neg_lo:[0,0,1] neg_hi:[0,0,1]
	v_pk_fma_f32 v[34:35], v[56:57], v[86:87], v[94:95]
	v_mov_b32_e32 v107, v53
	v_pk_add_f32 v[52:53], v[98:99], v[50:51]
	v_mov_b32_e32 v97, v33
	v_add_f32_e32 v53, v50, v60
	v_mov_b32_e32 v59, v54
	v_mov_b32_e32 v63, v34
	v_sub_f32_e32 v92, v54, v34
	v_mov_b32_e32 v61, v34
	v_pk_add_f32 v[32:33], v[106:107], v[96:97]
	v_pk_add_f32 v[34:35], v[106:107], v[96:97] neg_lo:[0,1] neg_hi:[0,1]
	v_fmac_f32_e32 v98, -0.5, v53
	v_pk_add_f32 v[58:59], v[58:59], v[62:63]
	v_sub_f32_e32 v93, v50, v60
	v_pk_add_f32 v[50:51], v[48:49], v[106:107]
	v_pk_fma_f32 v[48:49], v[32:33], 0.5, v[48:49] op_sel_hi:[1,0,1] neg_lo:[1,0,0] neg_hi:[1,0,0]
	v_pk_mul_f32 v[56:57], v[34:35], s[2:3] op_sel_hi:[1,0]
	v_fmamk_f32 v62, v92, 0x3f5db3d7, v98
	v_fmac_f32_e32 v98, 0xbf5db3d7, v92
	v_pk_add_f32 v[54:55], v[58:59], v[54:55]
	v_fmac_f32_e32 v58, -0.5, v59
	v_pk_add_f32 v[32:33], v[50:51], v[96:97]
	s_mov_b32 s3, s12
	v_pk_add_f32 v[34:35], v[48:49], v[56:57] op_sel:[0,1] op_sel_hi:[1,0] neg_lo:[0,1] neg_hi:[0,1]
	v_pk_add_f32 v[50:51], v[48:49], v[56:57] op_sel:[0,1] op_sel_hi:[1,0]
	v_mov_b32_e32 v53, v54
	v_fmamk_f32 v92, v93, 0xbf5db3d7, v58
	v_fmac_f32_e32 v58, 0x3f5db3d7, v93
	v_mul_f32_e32 v56, -0.5, v98
	v_pk_mul_f32 v[62:63], v[62:63], s[12:13] op_sel_hi:[0,1]
	v_mov_b32_e32 v49, v35
	v_pk_add_f32 v[52:53], v[52:53], v[60:61]
	v_fmac_f32_e32 v56, 0x3f5db3d7, v58
	v_pk_fma_f32 v[54:55], v[92:93], s[2:3], v[62:63]
	v_pk_fma_f32 v[60:61], v[92:93], s[2:3], v[62:63] op_sel_hi:[0,1,1] neg_lo:[0,0,1] neg_hi:[0,0,1]
	v_mul_f32_e32 v35, -0.5, v58
	s_waitcnt vmcnt(0)
	v_pk_mul_f32 v[58:59], v[38:39], v[28:29] op_sel:[0,1]
	v_mov_b32_e32 v55, v61
	v_pk_fma_f32 v[60:61], v[38:39], v[28:29], v[58:59] op_sel:[0,0,1] op_sel_hi:[1,1,0] neg_lo:[0,0,1] neg_hi:[0,0,1]
	v_pk_fma_f32 v[38:39], v[38:39], v[28:29], v[58:59] op_sel:[0,0,1] op_sel_hi:[1,0,0]
	v_mov_b32_e32 v48, v50
	v_mov_b32_e32 v38, v31
	;; [unrolled: 1-line block ×3, first 2 shown]
	v_pk_mul_f32 v[38:39], v[44:45], v[38:39] op_sel_hi:[1,0]
	v_cndmask_b32_e32 v50, 0, v101, vcc
	v_pk_fma_f32 v[58:59], v[44:45], v[30:31], v[38:39] op_sel:[0,0,1] op_sel_hi:[1,1,0] neg_lo:[0,0,1] neg_hi:[0,0,1]
	v_pk_fma_f32 v[38:39], v[44:45], v[30:31], v[38:39] op_sel:[0,0,1] op_sel_hi:[1,0,0]
	v_add_u32_e32 v50, v91, v50
	v_mov_b32_e32 v59, v39
	v_pk_mul_f32 v[38:39], v[46:47], v[24:25] op_sel:[0,1]
	v_lshl_add_u32 v128, v50, 3, v122
	v_pk_fma_f32 v[44:45], v[46:47], v[24:25], v[38:39] op_sel:[0,0,1] op_sel_hi:[1,1,0] neg_lo:[0,0,1] neg_hi:[0,0,1]
	v_pk_fma_f32 v[38:39], v[46:47], v[24:25], v[38:39] op_sel:[0,0,1] op_sel_hi:[1,0,0]
	v_fmac_f32_e32 v35, 0xbf5db3d7, v98
	v_mov_b32_e32 v38, v27
	v_mov_b32_e32 v45, v39
	v_pk_mul_f32 v[38:39], v[40:41], v[38:39] op_sel_hi:[1,0]
	v_sub_f32_e32 v98, v34, v56
	v_pk_fma_f32 v[46:47], v[40:41], v[26:27], v[38:39] op_sel:[0,0,1] op_sel_hi:[1,1,0] neg_lo:[0,0,1] neg_hi:[0,0,1]
	v_pk_fma_f32 v[38:39], v[40:41], v[26:27], v[38:39] op_sel:[0,0,1] op_sel_hi:[1,0,0]
	v_pk_add_f32 v[94:95], v[32:33], v[52:53] neg_lo:[0,1] neg_hi:[0,1]
	v_mov_b32_e32 v47, v39
	v_pk_mul_f32 v[38:39], v[42:43], v[88:89] op_sel:[0,1]
	v_pk_add_f32 v[100:101], v[58:59], v[46:47]
	v_pk_fma_f32 v[40:41], v[42:43], v[88:89], v[38:39] op_sel:[0,0,1] op_sel_hi:[1,1,0] neg_lo:[0,0,1] neg_hi:[0,0,1]
	v_pk_fma_f32 v[38:39], v[42:43], v[88:89], v[38:39] op_sel:[0,0,1] op_sel_hi:[1,0,0]
	v_pk_add_f32 v[42:43], v[60:61], v[44:45]
	v_mov_b32_e32 v41, v39
	v_pk_add_f32 v[38:39], v[36:37], v[58:59]
	v_pk_fma_f32 v[36:37], v[100:101], 0.5, v[36:37] op_sel_hi:[1,0,1] neg_lo:[1,0,0] neg_hi:[1,0,0]
	v_pk_add_f32 v[100:101], v[44:45], v[40:41]
	v_pk_add_f32 v[38:39], v[38:39], v[46:47]
	;; [unrolled: 1-line block ×3, first 2 shown]
	v_pk_add_f32 v[46:47], v[58:59], v[46:47] neg_lo:[0,1] neg_hi:[0,1]
	v_pk_fma_f32 v[60:61], v[100:101], 0.5, v[60:61] op_sel_hi:[1,0,1] neg_lo:[1,0,0] neg_hi:[1,0,0]
	v_pk_add_f32 v[40:41], v[44:45], v[40:41] neg_lo:[0,1] neg_hi:[0,1]
	v_pk_mul_f32 v[46:47], v[46:47], s[2:3] op_sel_hi:[1,0]
	v_pk_fma_f32 v[44:45], v[40:41], s[2:3], v[60:61] op_sel:[0,0,1] op_sel_hi:[1,0,0]
	v_pk_fma_f32 v[40:41], v[40:41], s[2:3], v[60:61] op_sel:[0,0,1] op_sel_hi:[1,0,0] neg_lo:[1,0,0] neg_hi:[1,0,0]
	v_pk_add_f32 v[58:59], v[46:47], v[36:37] op_sel:[1,0] op_sel_hi:[0,1]
	v_pk_add_f32 v[36:37], v[36:37], v[46:47] op_sel:[0,1] op_sel_hi:[1,0] neg_lo:[0,1] neg_hi:[0,1]
	v_mov_b32_e32 v60, v44
	v_mov_b32_e32 v61, v41
	v_mul_f32_e32 v50, 0xbf5db3d7, v45
	v_mov_b32_e32 v46, v36
	v_mul_f32_e32 v36, 0x3f5db3d7, v40
	v_fmac_f32_e32 v50, 0.5, v40
	s_mov_b32 s3, s6
	v_pk_mul_f32 v[40:41], v[60:61], 0.5 op_sel_hi:[1,0]
	v_mov_b32_e32 v47, v59
	v_pk_fma_f32 v[40:41], v[60:61], s[2:3], v[40:41] op_sel:[0,0,1] op_sel_hi:[1,1,0] neg_lo:[0,0,1] neg_hi:[0,0,1]
	v_pk_add_f32 v[62:63], v[38:39], v[42:43]
	v_fmac_f32_e32 v36, 0.5, v45
	v_pk_add_f32 v[60:61], v[46:47], v[40:41]
	v_pk_add_f32 v[38:39], v[38:39], v[42:43] neg_lo:[0,1] neg_hi:[0,1]
	v_pk_add_f32 v[92:93], v[48:49], v[54:55] neg_lo:[0,1] neg_hi:[0,1]
	v_sub_f32_e32 v96, v51, v35
	v_add_f32_e32 v44, v58, v36
	v_add_f32_e32 v45, v37, v50
	v_sub_f32_e32 v36, v58, v36
	v_sub_f32_e32 v37, v37, v50
	ds_write2_b64 v128, v[60:61], v[38:39] offset0:120 offset1:180
	v_pk_add_f32 v[38:39], v[46:47], v[40:41] neg_lo:[0,1] neg_hi:[0,1]
	v_add_u32_e32 v40, 0x400, v128
	ds_write2_b64 v128, v[62:63], v[44:45] offset1:60
	ds_write2_b64 v40, v[36:37], v[38:39] offset0:112 offset1:172
	s_and_saveexec_b64 s[2:3], s[4:5]
	s_cbranch_execz .LBB0_11
; %bb.10:
	v_mul_u32_u24_e32 v36, 0x168, v123
	v_add_u32_e32 v36, v36, v125
	v_lshl_add_u32 v38, v36, 3, v122
	v_pk_add_f32 v[32:33], v[32:33], v[52:53]
	v_pk_add_f32 v[36:37], v[48:49], v[54:55]
	v_add_f32_e32 v35, v51, v35
	v_add_f32_e32 v34, v34, v56
	ds_write2_b64 v38, v[32:33], v[36:37] offset1:60
	ds_write2_b64 v38, v[34:35], v[94:95] offset0:120 offset1:180
	v_mov_b32_e32 v99, v96
	v_add_u32_e32 v32, 0x400, v38
	ds_write2_b64 v32, v[92:93], v[98:99] offset0:112 offset1:172
.LBB0_11:
	s_or_b64 exec, exec, s[2:3]
	v_add_u32_e32 v32, 0x400, v69
	s_waitcnt lgkmcnt(0)
	s_barrier
	ds_read2_b64 v[52:55], v32 offset0:88 offset1:232
	v_add_u32_e32 v32, 0x1400, v69
	ds_read2_b64 v[56:59], v32 offset0:80 offset1:188
	v_add_u32_e32 v32, 0xc00, v69
	ds_read2_b64 v[48:51], v69 offset1:108
	ds_read2_b64 v[60:63], v32 offset0:84 offset1:192
	ds_read_b64 v[100:101], v69 offset:7488
	v_cmp_gt_u16_e64 s[2:3], 36, v66
	s_and_saveexec_b64 s[6:7], s[2:3]
	s_cbranch_execz .LBB0_13
; %bb.12:
	ds_read_b64 v[98:99], v69 offset:8352
	ds_read_b64 v[94:95], v69 offset:2592
	;; [unrolled: 1-line block ×3, first 2 shown]
	s_waitcnt lgkmcnt(2)
	v_mov_b32_e32 v96, v99
.LBB0_13:
	s_or_b64 exec, exec, s[6:7]
	v_lshlrev_b32_e32 v32, 4, v66
	v_lshlrev_b32_e32 v33, 4, v90
	s_movk_i32 s12, 0xffdc
	global_load_dwordx4 v[36:39], v32, s[0:1] offset:2832
	global_load_dwordx4 v[40:43], v33, s[0:1] offset:2832
	v_add_u32_e32 v32, 0xd80, v32
	s_mov_b64 s[6:7], 0x144
	s_mov_b32 s13, -1
	global_load_dwordx4 v[44:47], v32, s[0:1] offset:2832
	v_lshl_add_u64 v[32:33], v[66:67], 0, s[6:7]
	v_lshl_add_u64 v[34:35], v[66:67], 0, s[12:13]
	v_cndmask_b32_e64 v33, v35, v33, s[2:3]
	v_cndmask_b32_e64 v32, v34, v32, s[2:3]
	v_lshl_add_u64 v[32:33], v[32:33], 4, s[0:1]
	global_load_dwordx4 v[32:35], v[32:33], off offset:2832
	s_mov_b32 s0, 0x3f5db3d7
	v_lshl_add_u32 v67, v85, 3, v84
	s_waitcnt vmcnt(3) lgkmcnt(4)
	v_pk_mul_f32 v[90:91], v[54:55], v[36:37] op_sel:[0,1]
	v_mov_b32_e32 v102, v39
	s_waitcnt vmcnt(2) lgkmcnt(1)
	v_pk_mul_f32 v[104:105], v[60:61], v[40:41] op_sel:[0,1]
	v_mov_b32_e32 v106, v43
	v_pk_fma_f32 v[112:113], v[54:55], v[36:37], v[90:91] op_sel:[0,0,1] op_sel_hi:[1,1,0] neg_lo:[0,0,1] neg_hi:[0,0,1]
	s_waitcnt vmcnt(1)
	v_pk_mul_f32 v[108:109], v[62:63], v[44:45] op_sel:[0,1]
	v_mov_b32_e32 v110, v47
	v_pk_fma_f32 v[54:55], v[54:55], v[36:37], v[90:91] op_sel:[0,0,1] op_sel_hi:[1,0,0]
	v_pk_mul_f32 v[90:91], v[56:57], v[102:103] op_sel_hi:[1,0]
	v_pk_fma_f32 v[102:103], v[60:61], v[40:41], v[104:105] op_sel:[0,0,1] op_sel_hi:[1,1,0] neg_lo:[0,0,1] neg_hi:[0,0,1]
	v_pk_fma_f32 v[60:61], v[60:61], v[40:41], v[104:105] op_sel:[0,0,1] op_sel_hi:[1,0,0]
	v_pk_mul_f32 v[104:105], v[58:59], v[106:107] op_sel_hi:[1,0]
	v_pk_fma_f32 v[106:107], v[62:63], v[44:45], v[108:109] op_sel:[0,0,1] op_sel_hi:[1,1,0] neg_lo:[0,0,1] neg_hi:[0,0,1]
	v_pk_fma_f32 v[62:63], v[62:63], v[44:45], v[108:109] op_sel:[0,0,1] op_sel_hi:[1,0,0]
	s_waitcnt lgkmcnt(0)
	v_pk_mul_f32 v[108:109], v[100:101], v[110:111] op_sel_hi:[1,0]
	v_mov_b32_e32 v113, v55
	v_pk_fma_f32 v[54:55], v[56:57], v[38:39], v[90:91] op_sel:[0,0,1] op_sel_hi:[1,1,0] neg_lo:[0,0,1] neg_hi:[0,0,1]
	v_pk_fma_f32 v[56:57], v[56:57], v[38:39], v[90:91] op_sel:[0,0,1] op_sel_hi:[1,0,0]
	v_mov_b32_e32 v107, v63
	v_pk_fma_f32 v[62:63], v[100:101], v[46:47], v[108:109] op_sel:[0,0,1] op_sel_hi:[1,1,0] neg_lo:[0,0,1] neg_hi:[0,0,1]
	v_pk_fma_f32 v[90:91], v[100:101], v[46:47], v[108:109] op_sel:[0,0,1] op_sel_hi:[1,0,0]
	s_waitcnt vmcnt(0)
	v_pk_mul_f32 v[100:101], v[92:93], v[32:33] op_sel_hi:[0,1]
	v_pk_mul_f32 v[98:99], v[98:99], v[34:35] op_sel_hi:[0,1]
	v_mov_b32_e32 v55, v57
	v_pk_add_f32 v[56:57], v[48:49], v[112:113]
	v_mov_b32_e32 v103, v61
	v_pk_fma_f32 v[60:61], v[58:59], v[42:43], v[104:105] op_sel:[0,0,1] op_sel_hi:[1,1,0] neg_lo:[0,0,1] neg_hi:[0,0,1]
	v_pk_fma_f32 v[58:59], v[58:59], v[42:43], v[104:105] op_sel:[0,0,1] op_sel_hi:[1,0,0]
	v_mov_b32_e32 v63, v91
	v_pk_fma_f32 v[104:105], v[92:93], v[32:33], v[100:101] op_sel:[1,0,1] op_sel_hi:[1,1,0]
	v_pk_fma_f32 v[92:93], v[92:93], v[32:33], v[100:101] op_sel:[1,0,1] op_sel_hi:[1,1,0] neg_lo:[1,0,0] neg_hi:[1,0,0]
	v_pk_fma_f32 v[100:101], v[96:97], v[34:35], v[98:99] op_sel:[0,0,1] op_sel_hi:[1,1,0]
	v_pk_fma_f32 v[96:97], v[96:97], v[34:35], v[98:99] op_sel:[0,0,1] op_sel_hi:[0,1,0] neg_lo:[1,0,0] neg_hi:[1,0,0]
	v_pk_add_f32 v[90:91], v[52:53], v[106:107]
	v_pk_add_f32 v[56:57], v[56:57], v[54:55]
	;; [unrolled: 1-line block ×3, first 2 shown]
	v_pk_add_f32 v[54:55], v[112:113], v[54:55] neg_lo:[0,1] neg_hi:[0,1]
	v_mov_b32_e32 v105, v93
	v_mov_b32_e32 v101, v97
	v_pk_add_f32 v[108:109], v[106:107], v[62:63]
	v_pk_add_f32 v[106:107], v[106:107], v[62:63] neg_lo:[0,1] neg_hi:[0,1]
	v_pk_add_f32 v[90:91], v[90:91], v[62:63]
	v_mov_b32_e32 v62, v93
	v_mov_b32_e32 v63, v104
	;; [unrolled: 1-line block ×4, first 2 shown]
	v_pk_fma_f32 v[48:49], v[98:99], 0.5, v[48:49] op_sel_hi:[1,0,1] neg_lo:[1,0,0] neg_hi:[1,0,0]
	v_pk_mul_f32 v[54:55], v[54:55], s[0:1] op_sel_hi:[1,0]
	v_pk_add_f32 v[98:99], v[62:63], v[96:97]
	v_pk_add_f32 v[100:101], v[104:105], v[100:101] neg_lo:[0,1] neg_hi:[0,1]
	v_pk_add_f32 v[62:63], v[94:95], v[62:63]
	v_pk_add_f32 v[104:105], v[48:49], v[54:55] op_sel:[0,1] op_sel_hi:[1,0]
	v_pk_add_f32 v[48:49], v[48:49], v[54:55] op_sel:[0,1] op_sel_hi:[1,0] neg_lo:[0,1] neg_hi:[0,1]
	v_mov_b32_e32 v61, v59
	v_pk_add_f32 v[58:59], v[50:51], v[102:103]
	v_pk_add_f32 v[96:97], v[62:63], v[96:97]
	v_mov_b32_e32 v62, v104
	v_mov_b32_e32 v63, v49
	;; [unrolled: 1-line block ×3, first 2 shown]
	ds_write_b64 v69, v[62:63] offset:2880
	ds_write_b64 v69, v[48:49] offset:5760
	v_pk_add_f32 v[48:49], v[58:59], v[60:61]
	ds_write2_b64 v69, v[56:57], v[48:49] offset1:108
	v_pk_add_f32 v[48:49], v[102:103], v[60:61]
	v_pk_fma_f32 v[52:53], v[108:109], 0.5, v[52:53] op_sel_hi:[1,0,1] neg_lo:[1,0,0] neg_hi:[1,0,0]
	v_pk_mul_f32 v[92:93], v[106:107], s[0:1] op_sel_hi:[1,0]
	v_pk_fma_f32 v[48:49], v[48:49], 0.5, v[50:51] op_sel_hi:[1,0,1] neg_lo:[1,0,0] neg_hi:[1,0,0]
	v_pk_add_f32 v[50:51], v[102:103], v[60:61] neg_lo:[0,1] neg_hi:[0,1]
	v_pk_add_f32 v[54:55], v[52:53], v[92:93] op_sel:[0,1] op_sel_hi:[1,0] neg_lo:[0,1] neg_hi:[0,1]
	v_pk_add_f32 v[92:93], v[52:53], v[92:93] op_sel:[0,1] op_sel_hi:[1,0]
	v_pk_fma_f32 v[52:53], v[98:99], 0.5, v[94:95] op_sel_hi:[1,0,1] neg_lo:[1,0,0] neg_hi:[1,0,0]
	v_pk_mul_f32 v[50:51], v[50:51], s[0:1] op_sel_hi:[1,0]
	v_mov_b32_e32 v94, v54
	v_mov_b32_e32 v95, v93
	;; [unrolled: 1-line block ×3, first 2 shown]
	v_pk_fma_f32 v[54:55], v[100:101], s[0:1], v[52:53] op_sel_hi:[1,0,1]
	v_pk_fma_f32 v[98:99], v[100:101], s[0:1], v[52:53] op_sel_hi:[1,0,1] neg_lo:[1,0,0] neg_hi:[1,0,0]
	v_pk_add_f32 v[52:53], v[48:49], v[50:51] op_sel:[0,1] op_sel_hi:[1,0]
	v_pk_add_f32 v[48:49], v[48:49], v[50:51] op_sel:[0,1] op_sel_hi:[1,0] neg_lo:[0,1] neg_hi:[0,1]
	v_mov_b32_e32 v100, v54
	v_mov_b32_e32 v101, v99
	;; [unrolled: 1-line block ×6, first 2 shown]
	ds_write_b64 v69, v[50:51] offset:3744
	ds_write_b64 v69, v[48:49] offset:6624
	;; [unrolled: 1-line block ×5, first 2 shown]
	s_and_saveexec_b64 s[0:1], s[2:3]
	s_cbranch_execz .LBB0_15
; %bb.14:
	ds_write_b64 v69, v[96:97] offset:2592
	ds_write_b64 v69, v[100:101] offset:5472
	;; [unrolled: 1-line block ×3, first 2 shown]
.LBB0_15:
	s_or_b64 exec, exec, s[0:1]
	v_lshlrev_b32_e32 v48, 3, v66
	v_mov_b32_e32 v49, 0
	v_lshl_add_u64 v[50:51], s[16:17], 0, v[48:49]
	s_mov_b64 s[0:1], 0x21c0
	v_lshl_add_u64 v[48:49], v[50:51], 0, s[0:1]
	s_movk_i32 s0, 0x3000
	v_add_co_u32_e64 v54, s[0:1], s0, v50
	v_add_co_u32_e32 v52, vcc, 0x2000, v50
	s_nop 0
	v_addc_co_u32_e64 v55, s[0:1], 0, v51, s[0:1]
	s_waitcnt lgkmcnt(0)
	s_barrier
	global_load_dwordx2 v[84:85], v[48:49], off offset:1440
	global_load_dwordx2 v[102:103], v[54:55], off offset:2112
	;; [unrolled: 1-line block ×3, first 2 shown]
	v_addc_co_u32_e32 v53, vcc, 0, v51, vcc
	global_load_dwordx2 v[106:107], v[52:53], off offset:448
	global_load_dwordx2 v[108:109], v[54:55], off offset:672
	;; [unrolled: 1-line block ×3, first 2 shown]
	v_add_u32_e32 v50, 0x1600, v69
	ds_read2_b64 v[52:55], v69 offset1:180
	ds_read2_b64 v[56:59], v50 offset0:16 offset1:196
	v_add_u32_e32 v51, 0xa00, v69
	ds_read2_b64 v[60:63], v51 offset0:40 offset1:220
	s_waitcnt vmcnt(5) lgkmcnt(2)
	v_mul_f32_e32 v112, v55, v85
	v_mul_f32_e32 v113, v54, v85
	s_waitcnt vmcnt(4) lgkmcnt(1)
	v_mul_f32_e32 v114, v57, v103
	v_mul_f32_e32 v85, v56, v103
	s_waitcnt vmcnt(3)
	v_mul_f32_e32 v115, v59, v105
	v_mul_f32_e32 v103, v58, v105
	s_waitcnt vmcnt(2)
	v_mul_f32_e32 v116, v53, v107
	v_mul_f32_e32 v105, v52, v107
	v_fma_f32 v112, v54, v84, -v112
	v_fmac_f32_e32 v113, v55, v84
	s_waitcnt vmcnt(0) lgkmcnt(0)
	v_mul_f32_e32 v54, v61, v111
	v_mul_f32_e32 v55, v60, v111
	;; [unrolled: 1-line block ×4, first 2 shown]
	v_fma_f32 v84, v56, v102, -v114
	v_fmac_f32_e32 v85, v57, v102
	v_fma_f32 v102, v58, v104, -v115
	v_fmac_f32_e32 v103, v59, v104
	v_fma_f32 v104, v52, v106, -v116
	v_fmac_f32_e32 v105, v53, v106
	v_fma_f32 v54, v60, v110, -v54
	v_fmac_f32_e32 v55, v61, v110
	v_fma_f32 v106, v62, v108, -v111
	v_fmac_f32_e32 v107, v63, v108
	ds_write2_b64 v69, v[104:105], v[112:113] offset1:180
	ds_write2_b64 v51, v[54:55], v[106:107] offset0:40 offset1:220
	ds_write2_b64 v50, v[84:85], v[102:103] offset0:16 offset1:196
	s_and_saveexec_b64 s[0:1], s[4:5]
	s_cbranch_execz .LBB0_17
; %bb.16:
	s_movk_i32 s6, 0x1000
	global_load_dwordx2 v[84:85], v[48:49], off offset:864
	global_load_dwordx2 v[102:103], v[48:49], off offset:2304
	global_load_dwordx2 v[104:105], v[48:49], off offset:3744
	v_add_co_u32_e32 v48, vcc, s6, v48
	v_add_u32_e32 v112, 0x200, v69
	s_nop 0
	v_addc_co_u32_e32 v49, vcc, 0, v49, vcc
	global_load_dwordx2 v[106:107], v[48:49], off offset:1088
	global_load_dwordx2 v[108:109], v[48:49], off offset:2528
	;; [unrolled: 1-line block ×3, first 2 shown]
	ds_read2_b64 v[52:55], v112 offset0:44 offset1:224
	v_add_u32_e32 v113, 0xe00, v69
	v_add_u32_e32 v114, 0x1800, v69
	ds_read2_b64 v[56:59], v113 offset0:20 offset1:200
	ds_read2_b64 v[60:63], v114 offset0:60 offset1:240
	s_waitcnt vmcnt(5) lgkmcnt(2)
	v_mul_f32_e32 v48, v53, v85
	v_mul_f32_e32 v49, v52, v85
	s_waitcnt vmcnt(4)
	v_mul_f32_e32 v115, v55, v103
	v_mul_f32_e32 v85, v54, v103
	v_fma_f32 v48, v52, v84, -v48
	v_fmac_f32_e32 v49, v53, v84
	v_fma_f32 v84, v54, v102, -v115
	v_fmac_f32_e32 v85, v55, v102
	s_waitcnt vmcnt(3) lgkmcnt(1)
	v_mul_f32_e32 v116, v57, v105
	v_mul_f32_e32 v103, v56, v105
	ds_write2_b64 v112, v[48:49], v[84:85] offset0:44 offset1:224
	s_waitcnt vmcnt(2)
	v_mul_f32_e32 v48, v59, v107
	v_mul_f32_e32 v49, v58, v107
	v_fma_f32 v102, v56, v104, -v116
	v_fmac_f32_e32 v103, v57, v104
	s_waitcnt vmcnt(1) lgkmcnt(1)
	v_mul_f32_e32 v52, v61, v109
	v_mul_f32_e32 v53, v60, v109
	s_waitcnt vmcnt(0)
	v_mul_f32_e32 v54, v63, v111
	v_mul_f32_e32 v55, v62, v111
	v_fma_f32 v48, v58, v106, -v48
	v_fmac_f32_e32 v49, v59, v106
	v_fma_f32 v52, v60, v108, -v52
	v_fmac_f32_e32 v53, v61, v108
	;; [unrolled: 2-line block ×3, first 2 shown]
	ds_write2_b64 v113, v[102:103], v[48:49] offset0:20 offset1:200
	ds_write2_b64 v114, v[52:53], v[54:55] offset0:60 offset1:240
.LBB0_17:
	s_or_b64 exec, exec, s[0:1]
	s_waitcnt lgkmcnt(0)
	s_barrier
	ds_read2_b64 v[52:55], v69 offset1:180
	ds_read2_b64 v[56:59], v51 offset0:40 offset1:220
	ds_read2_b64 v[60:63], v50 offset0:16 offset1:196
	s_and_saveexec_b64 s[0:1], s[4:5]
	s_cbranch_execz .LBB0_19
; %bb.18:
	v_lshl_add_u32 v48, v66, 3, v122
	ds_read_b64 v[90:91], v69 offset:864
	ds_read_b64 v[94:95], v69 offset:3744
	;; [unrolled: 1-line block ×6, first 2 shown]
.LBB0_19:
	s_or_b64 exec, exec, s[0:1]
	s_waitcnt lgkmcnt(0)
	v_pk_add_f32 v[48:49], v[58:59], v[62:63]
	v_pk_add_f32 v[132:133], v[54:55], v[58:59]
	v_fma_f32 v134, -0.5, v48, v54
	v_pk_add_f32 v[50:51], v[58:59], v[62:63] neg_lo:[0,1] neg_hi:[0,1]
	v_fma_f32 v138, -0.5, v49, v55
	v_pk_add_f32 v[54:55], v[96:97], v[98:99]
	v_fmamk_f32 v136, v51, 0xbf5db3d7, v134
	s_mov_b32 s6, 0x3f5db3d7
	v_fmac_f32_e32 v134, 0x3f5db3d7, v51
	v_fmamk_f32 v140, v50, 0x3f5db3d7, v138
	v_fmac_f32_e32 v138, 0xbf5db3d7, v50
	v_pk_add_f32 v[48:49], v[94:95], v[100:101]
	v_pk_add_f32 v[50:51], v[94:95], v[100:101] neg_lo:[0,1] neg_hi:[0,1]
	v_pk_add_f32 v[58:59], v[96:97], v[98:99] neg_lo:[0,1] neg_hi:[0,1]
	v_fma_f32 v144, -0.5, v55, v93
	s_mov_b32 s12, 0.5
	v_pk_add_f32 v[130:131], v[52:53], v[56:57]
	v_fma_f32 v120, -0.5, v54, v92
	v_fmamk_f32 v118, v58, 0x3f5db3d7, v144
	v_pk_fma_f32 v[48:49], v[48:49], 0.5, v[90:91] op_sel_hi:[1,0,1] neg_lo:[1,0,0] neg_hi:[1,0,0]
	v_pk_mul_f32 v[50:51], v[50:51], s[6:7] op_sel_hi:[1,0]
	s_mov_b32 s7, s12
	v_pk_add_f32 v[62:63], v[132:133], v[62:63]
	v_pk_add_f32 v[132:133], v[56:57], v[60:61]
	v_pk_add_f32 v[56:57], v[56:57], v[60:61] neg_lo:[0,1] neg_hi:[0,1]
	v_fmamk_f32 v142, v59, 0xbf5db3d7, v120
	v_pk_add_f32 v[146:147], v[48:49], v[50:51] op_sel:[0,1] op_sel_hi:[1,0] neg_lo:[0,1] neg_hi:[0,1]
	v_pk_add_f32 v[54:55], v[48:49], v[50:51] op_sel:[0,1] op_sel_hi:[1,0]
	s_mov_b32 s13, s6
	v_pk_mul_f32 v[48:49], v[118:119], s[6:7] op_sel_hi:[0,1]
	v_pk_fma_f32 v[52:53], v[132:133], 0.5, v[52:53] op_sel_hi:[1,0,1] neg_lo:[1,0,0] neg_hi:[1,0,0]
	v_pk_mul_f32 v[56:57], v[56:57], s[6:7] op_sel_hi:[1,0]
	v_pk_mul_f32 v[132:133], v[140:141], s[6:7] op_sel_hi:[0,1]
	v_pk_fma_f32 v[118:119], v[142:143], s[12:13], v[48:49] neg_lo:[0,0,1] neg_hi:[0,0,1]
	v_pk_fma_f32 v[48:49], v[142:143], s[12:13], v[48:49] op_sel_hi:[0,1,1]
	v_pk_add_f32 v[142:143], v[130:131], v[60:61]
	v_pk_add_f32 v[60:61], v[52:53], v[56:57] op_sel:[0,1] op_sel_hi:[1,0] neg_lo:[0,1] neg_hi:[0,1]
	v_pk_add_f32 v[52:53], v[52:53], v[56:57] op_sel:[0,1] op_sel_hi:[1,0]
	v_pk_fma_f32 v[140:141], v[136:137], s[12:13], v[132:133] neg_lo:[0,0,1] neg_hi:[0,0,1]
	v_pk_fma_f32 v[132:133], v[136:137], s[12:13], v[132:133] op_sel_hi:[0,1,1]
	v_mov_b32_e32 v56, v60
	v_mov_b32_e32 v57, v53
	;; [unrolled: 1-line block ×3, first 2 shown]
	v_pk_add_f32 v[130:131], v[142:143], v[62:63]
	v_pk_add_f32 v[132:133], v[56:57], v[140:141]
	s_mov_b32 s0, -0.5
	v_fmac_f32_e32 v144, 0xbf5db3d7, v58
	s_mov_b32 s1, s6
	s_barrier
	ds_write_b128 v124, v[130:133]
	v_pk_mul_f32 v[130:131], v[138:139], s[6:7] op_sel_hi:[0,1]
	v_fmac_f32_e32 v120, 0x3f5db3d7, v59
	v_mov_b32_e32 v119, v49
	v_pk_mul_f32 v[48:49], v[144:145], s[6:7] op_sel_hi:[0,1]
	v_pk_fma_f32 v[130:131], v[134:135], s[0:1], v[130:131] op_sel_hi:[0,1,1] neg_lo:[0,0,1] neg_hi:[0,0,1]
	v_mov_b32_e32 v53, v61
	v_mov_b32_e32 v58, v146
	v_mov_b32_e32 v59, v55
	v_mov_b32_e32 v55, v147
	v_pk_fma_f32 v[120:121], v[120:121], s[0:1], v[48:49] op_sel_hi:[0,1,1] neg_lo:[0,0,1] neg_hi:[0,0,1]
	v_pk_add_f32 v[60:61], v[52:53], v[130:131]
	v_pk_add_f32 v[62:63], v[142:143], v[62:63] neg_lo:[0,1] neg_hi:[0,1]
	v_mov_b32_e32 v116, v14
	v_mov_b32_e32 v117, v14
	;; [unrolled: 1-line block ×27, first 2 shown]
	v_pk_add_f32 v[48:49], v[58:59], v[118:119] neg_lo:[0,1] neg_hi:[0,1]
	v_pk_add_f32 v[50:51], v[54:55], v[120:121] neg_lo:[0,1] neg_hi:[0,1]
	ds_write_b128 v124, v[60:63] offset:16
	v_pk_add_f32 v[60:61], v[56:57], v[140:141] neg_lo:[0,1] neg_hi:[0,1]
	v_pk_add_f32 v[62:63], v[52:53], v[130:131] neg_lo:[0,1] neg_hi:[0,1]
	ds_write_b128 v124, v[60:63] offset:32
	s_and_saveexec_b64 s[0:1], s[4:5]
	s_cbranch_execz .LBB0_21
; %bb.20:
	v_pk_add_f32 v[52:53], v[92:93], v[96:97]
	v_pk_add_f32 v[56:57], v[90:91], v[94:95]
	;; [unrolled: 1-line block ×4, first 2 shown]
	v_lshl_add_u32 v92, v126, 3, v122
	v_pk_add_f32 v[56:57], v[60:61], v[62:63]
	v_pk_add_f32 v[58:59], v[58:59], v[118:119]
	;; [unrolled: 1-line block ×3, first 2 shown]
	v_pk_add_f32 v[54:55], v[60:61], v[62:63] neg_lo:[0,1] neg_hi:[0,1]
	ds_write_b128 v92, v[56:59]
	ds_write_b128 v92, v[52:55] offset:16
	ds_write_b128 v92, v[48:51] offset:32
.LBB0_21:
	s_or_b64 exec, exec, s[0:1]
	v_mov_b32_e32 v56, v26
	v_mov_b32_e32 v57, v26
	v_add_u32_e32 v26, 0x400, v69
	s_waitcnt lgkmcnt(0)
	s_barrier
	ds_read2_b64 v[92:95], v26 offset0:88 offset1:196
	v_add_u32_e32 v26, 0xc00, v69
	ds_read2_b64 v[96:99], v26 offset0:48 offset1:156
	v_add_u32_e32 v26, 0x1000, v69
	;; [unrolled: 2-line block ×3, first 2 shown]
	ds_read2_b64 v[130:133], v90 offset0:96 offset1:204
	s_waitcnt lgkmcnt(3)
	v_pk_mul_f32 v[14:15], v[14:15], v[92:93]
	s_waitcnt lgkmcnt(2)
	v_pk_mul_f32 v[10:11], v[10:11], v[96:97]
	v_pk_fma_f32 v[100:101], v[116:117], v[92:93], v[14:15] op_sel:[0,0,1] op_sel_hi:[1,1,0]
	v_pk_fma_f32 v[14:15], v[116:117], v[92:93], v[14:15] op_sel:[0,0,1] op_sel_hi:[1,1,0] neg_lo:[0,0,1] neg_hi:[0,0,1]
	ds_read2_b64 v[52:55], v69 offset1:108
	v_mov_b32_e32 v101, v15
	v_pk_fma_f32 v[14:15], v[114:115], v[96:97], v[10:11] op_sel:[0,0,1] op_sel_hi:[1,1,0]
	v_pk_fma_f32 v[10:11], v[114:115], v[96:97], v[10:11] op_sel:[0,0,1] op_sel_hi:[1,1,0] neg_lo:[0,0,1] neg_hi:[0,0,1]
	s_waitcnt lgkmcnt(2)
	v_pk_mul_f32 v[6:7], v[6:7], v[118:119]
	v_mov_b32_e32 v15, v11
	v_pk_fma_f32 v[10:11], v[112:113], v[118:119], v[6:7] op_sel:[0,0,1] op_sel_hi:[1,1,0]
	v_pk_fma_f32 v[6:7], v[112:113], v[118:119], v[6:7] op_sel:[0,0,1] op_sel_hi:[1,1,0] neg_lo:[0,0,1] neg_hi:[0,0,1]
	s_waitcnt lgkmcnt(1)
	v_pk_mul_f32 v[2:3], v[2:3], v[130:131]
	v_mov_b32_e32 v11, v7
	v_pk_fma_f32 v[6:7], v[110:111], v[130:131], v[2:3] op_sel:[0,0,1] op_sel_hi:[1,1,0]
	v_pk_fma_f32 v[2:3], v[110:111], v[130:131], v[2:3] op_sel:[0,0,1] op_sel_hi:[1,1,0] neg_lo:[0,0,1] neg_hi:[0,0,1]
	v_pk_add_f32 v[92:93], v[14:15], v[10:11] neg_lo:[0,1] neg_hi:[0,1]
	v_mov_b32_e32 v7, v3
	v_pk_add_f32 v[96:97], v[100:101], v[6:7]
	s_mov_b32 s6, 0x3f737871
	s_waitcnt lgkmcnt(0)
	v_pk_fma_f32 v[96:97], v[96:97], 0.5, v[52:53] op_sel_hi:[1,0,1] neg_lo:[1,0,0] neg_hi:[1,0,0]
	v_pk_add_f32 v[2:3], v[100:101], v[6:7] neg_lo:[0,1] neg_hi:[0,1]
	s_mov_b32 s0, 0x3f167918
	v_pk_fma_f32 v[116:117], v[92:93], s[6:7], v[96:97] op_sel:[1,0,0] op_sel_hi:[0,0,1]
	v_pk_fma_f32 v[96:97], v[92:93], s[6:7], v[96:97] op_sel:[1,0,0] op_sel_hi:[0,0,1] neg_lo:[1,0,0] neg_hi:[1,0,0]
	v_pk_add_f32 v[110:111], v[14:15], v[100:101] neg_lo:[0,1] neg_hi:[0,1]
	v_pk_add_f32 v[112:113], v[10:11], v[6:7] neg_lo:[0,1] neg_hi:[0,1]
	v_pk_fma_f32 v[96:97], v[2:3], s[0:1], v[96:97] op_sel:[1,0,0] op_sel_hi:[0,0,1]
	v_pk_fma_f32 v[116:117], v[2:3], s[0:1], v[116:117] op_sel:[1,0,0] op_sel_hi:[0,0,1] neg_lo:[1,0,0] neg_hi:[1,0,0]
	v_pk_add_f32 v[110:111], v[110:111], v[112:113]
	s_mov_b32 s12, 0x3e9e377a
	v_mov_b32_e32 v118, v116
	v_mov_b32_e32 v119, v97
	;; [unrolled: 1-line block ×3, first 2 shown]
	v_pk_fma_f32 v[118:119], v[110:111], s[12:13], v[118:119] op_sel_hi:[1,0,1]
	v_pk_fma_f32 v[96:97], v[110:111], s[12:13], v[96:97] op_sel_hi:[1,0,1]
	v_pk_add_f32 v[110:111], v[14:15], v[10:11]
	v_pk_add_f32 v[112:113], v[100:101], v[14:15] neg_lo:[0,1] neg_hi:[0,1]
	v_pk_add_f32 v[114:115], v[6:7], v[10:11] neg_lo:[0,1] neg_hi:[0,1]
	v_pk_fma_f32 v[110:111], v[110:111], 0.5, v[52:53] op_sel_hi:[1,0,1] neg_lo:[1,0,0] neg_hi:[1,0,0]
	v_pk_add_f32 v[112:113], v[112:113], v[114:115]
	v_pk_fma_f32 v[114:115], v[2:3], s[6:7], v[110:111] op_sel:[1,0,0] op_sel_hi:[0,0,1] neg_lo:[1,0,0] neg_hi:[1,0,0]
	v_pk_fma_f32 v[2:3], v[2:3], s[6:7], v[110:111] op_sel:[1,0,0] op_sel_hi:[0,0,1]
	v_pk_fma_f32 v[2:3], v[92:93], s[0:1], v[2:3] op_sel:[1,0,0] op_sel_hi:[0,0,1]
	v_pk_fma_f32 v[92:93], v[92:93], s[0:1], v[114:115] op_sel:[1,0,0] op_sel_hi:[0,0,1] neg_lo:[1,0,0] neg_hi:[1,0,0]
	v_pk_mul_f32 v[12:13], v[12:13], v[54:55]
	v_pk_mul_f32 v[8:9], v[8:9], v[94:95]
	;; [unrolled: 1-line block ×5, first 2 shown]
	v_mov_b32_e32 v110, v92
	v_mov_b32_e32 v111, v3
	;; [unrolled: 1-line block ×3, first 2 shown]
	v_pk_fma_f32 v[92:93], v[108:109], v[54:55], v[12:13] op_sel:[0,0,1] op_sel_hi:[1,1,0]
	v_pk_fma_f32 v[12:13], v[108:109], v[54:55], v[12:13] op_sel:[0,0,1] op_sel_hi:[1,1,0] neg_lo:[0,0,1] neg_hi:[0,0,1]
	v_pk_fma_f32 v[54:55], v[106:107], v[94:95], v[8:9] op_sel:[0,0,1] op_sel_hi:[1,1,0]
	v_pk_fma_f32 v[8:9], v[106:107], v[94:95], v[8:9] op_sel:[0,0,1] op_sel_hi:[1,1,0] neg_lo:[0,0,1] neg_hi:[0,0,1]
	;; [unrolled: 2-line block ×4, first 2 shown]
	v_pk_fma_f32 v[102:103], v[84:85], v[132:133], v[82:83] op_sel:[0,0,1] op_sel_hi:[1,1,0]
	v_pk_fma_f32 v[110:111], v[112:113], s[12:13], v[110:111] op_sel_hi:[1,0,1]
	v_pk_fma_f32 v[2:3], v[112:113], s[12:13], v[2:3] op_sel_hi:[1,0,1]
	v_mov_b32_e32 v108, v54
	v_mov_b32_e32 v109, v102
	;; [unrolled: 1-line block ×4, first 2 shown]
	v_pk_add_f32 v[114:115], v[108:109], v[112:113] neg_lo:[0,1] neg_hi:[0,1]
	v_mov_b32_e32 v95, v5
	v_mov_b32_e32 v99, v1
	v_pk_fma_f32 v[82:83], v[84:85], v[132:133], v[82:83] op_sel:[0,0,1] op_sel_hi:[1,1,0] neg_lo:[0,0,1] neg_hi:[0,0,1]
	v_mov_b32_e32 v0, v115
	v_mov_b32_e32 v55, v9
	;; [unrolled: 1-line block ×3, first 2 shown]
	v_pk_add_f32 v[84:85], v[94:95], v[98:99]
	v_pk_add_f32 v[106:107], v[94:95], v[98:99] neg_lo:[0,1] neg_hi:[0,1]
	v_pk_add_f32 v[114:115], v[114:115], v[0:1]
	v_fma_f32 v8, -0.5, v84, v92
	v_pk_add_f32 v[104:105], v[54:55], v[102:103] neg_lo:[0,1] neg_hi:[0,1]
	v_mov_b32_e32 v115, v107
	s_mov_b32 s13, s0
	v_fmamk_f32 v4, v105, 0xbf737871, v8
	v_pk_mul_f32 v[114:115], v[114:115], s[12:13]
	v_fmac_f32_e32 v8, 0x3f737871, v105
	v_sub_f32_e32 v0, v4, v115
	v_add_f32_e32 v4, v114, v0
	v_add_f32_e32 v0, v115, v8
	v_pk_add_f32 v[108:109], v[112:113], v[108:109] neg_lo:[0,1] neg_hi:[0,1]
	v_add_f32_e32 v8, v114, v0
	v_mov_b32_e32 v0, v109
	v_pk_add_f32 v[114:115], v[54:55], v[102:103]
	v_mov_b32_e32 v26, v92
	v_pk_add_f32 v[108:109], v[108:109], v[0:1]
	v_fmac_f32_e32 v26, -0.5, v114
	v_mov_b32_e32 v109, v105
	v_mov_b32_e32 v93, v13
	v_fmamk_f32 v12, v107, 0x3f737871, v26
	v_pk_mul_f32 v[108:109], v[108:109], s[12:13]
	v_fmac_f32_e32 v26, 0xbf737871, v107
	v_sub_f32_e32 v0, v12, v109
	v_pk_add_f32 v[54:55], v[92:93], v[54:55]
	v_add_f32_e32 v12, v108, v0
	v_add_f32_e32 v0, v109, v26
	v_pk_add_f32 v[54:55], v[54:55], v[94:95]
	v_add_f32_e32 v26, v108, v0
	v_pk_add_f32 v[54:55], v[54:55], v[98:99]
	v_mov_b32_e32 v82, v9
	v_mov_b32_e32 v0, v5
	v_pk_add_f32 v[92:93], v[54:55], v[102:103]
	v_pk_add_f32 v[54:55], v[82:83], v[0:1] neg_lo:[0,1] neg_hi:[0,1]
	v_fma_f32 v85, -0.5, v85, v13
	v_mov_b32_e32 v84, v55
	v_pk_add_f32 v[54:55], v[54:55], v[84:85]
	v_pk_add_f32 v[0:1], v[0:1], v[82:83] neg_lo:[0,1] neg_hi:[0,1]
	v_mov_b32_e32 v55, v106
	v_fmamk_f32 v91, v104, 0x3f737871, v85
	v_pk_mul_f32 v[54:55], v[54:55], s[12:13]
	v_mov_b32_e32 v82, v1
	v_add_f32_e32 v5, v55, v91
	v_fmac_f32_e32 v85, 0xbf737871, v104
	v_pk_add_f32 v[0:1], v[0:1], v[82:83]
	v_add_f32_e32 v84, v54, v5
	v_sub_f32_e32 v5, v85, v55
	v_fmac_f32_e32 v13, -0.5, v115
	v_mov_b32_e32 v1, v104
	s_mov_b32 s16, 0x3f4f1bbd
	v_add_f32_e32 v54, v54, v5
	v_fmamk_f32 v5, v106, 0xbf737871, v13
	v_pk_mul_f32 v[0:1], v[0:1], s[12:13]
	s_mov_b32 s1, s16
	v_add_f32_e32 v5, v1, v5
	s_mov_b32 s17, s0
	v_pk_mul_f32 v[84:85], v[84:85], s[0:1] op_sel_hi:[0,1]
	v_add_f32_e32 v82, v0, v5
	v_pk_fma_f32 v[94:95], v[4:5], s[16:17], v[84:85] neg_lo:[0,0,1] neg_hi:[0,0,1]
	v_pk_fma_f32 v[4:5], v[4:5], s[16:17], v[84:85] op_sel_hi:[0,1,1]
	v_mov_b32_e32 v95, v5
	v_pk_add_f32 v[4:5], v[52:53], v[100:101]
	v_fmac_f32_e32 v13, 0x3f737871, v106
	v_pk_add_f32 v[4:5], v[4:5], v[14:15]
	v_sub_f32_e32 v1, v13, v1
	v_pk_add_f32 v[4:5], v[4:5], v[10:11]
	s_mov_b32 s7, s12
	v_add_f32_e32 v0, v0, v1
	v_pk_add_f32 v[4:5], v[4:5], v[6:7]
	s_mov_b32 s13, s6
	v_pk_mul_f32 v[6:7], v[82:83], s[6:7] op_sel_hi:[0,1]
	v_pk_fma_f32 v[10:11], v[12:13], s[12:13], v[6:7] neg_lo:[0,0,1] neg_hi:[0,0,1]
	v_pk_fma_f32 v[6:7], v[12:13], s[12:13], v[6:7] op_sel_hi:[0,1,1]
	s_mov_b32 s12, 0xbe9e377a
	v_pk_mul_f32 v[0:1], v[0:1], s[6:7] op_sel_hi:[0,1]
	v_mov_b32_e32 v11, v7
	v_pk_add_f32 v[6:7], v[4:5], v[92:93]
	v_pk_fma_f32 v[0:1], v[26:27], s[12:13], v[0:1] op_sel_hi:[0,1,1] neg_lo:[0,0,1] neg_hi:[0,0,1]
	s_mov_b32 s6, 0xbf4f1bbd
	s_mov_b32 s7, s0
	v_pk_mul_f32 v[12:13], v[54:55], s[0:1] op_sel_hi:[0,1]
	v_pk_add_f32 v[82:83], v[110:111], v[94:95]
	v_pk_add_f32 v[52:53], v[96:97], v[0:1] neg_lo:[0,1] neg_hi:[0,1]
	v_pk_fma_f32 v[8:9], v[8:9], s[6:7], v[12:13] op_sel_hi:[0,1,1] neg_lo:[0,0,1] neg_hi:[0,0,1]
	s_barrier
	ds_write2_b64 v127, v[6:7], v[82:83] offset1:6
	v_pk_add_f32 v[6:7], v[118:119], v[10:11]
	v_pk_add_f32 v[0:1], v[96:97], v[0:1]
	v_pk_add_f32 v[54:55], v[2:3], v[8:9] neg_lo:[0,1] neg_hi:[0,1]
	ds_write2_b64 v127, v[6:7], v[0:1] offset0:12 offset1:18
	v_pk_add_f32 v[0:1], v[2:3], v[8:9]
	v_pk_add_f32 v[2:3], v[4:5], v[92:93] neg_lo:[0,1] neg_hi:[0,1]
	v_add_u32_e32 v4, 0xa00, v69
	v_pk_add_f32 v[14:15], v[118:119], v[10:11] neg_lo:[0,1] neg_hi:[0,1]
	v_pk_add_f32 v[12:13], v[110:111], v[94:95] neg_lo:[0,1] neg_hi:[0,1]
	ds_write2_b64 v127, v[0:1], v[2:3] offset0:24 offset1:30
	ds_write2_b64 v127, v[12:13], v[14:15] offset0:36 offset1:42
	;; [unrolled: 1-line block ×3, first 2 shown]
	s_waitcnt lgkmcnt(0)
	s_barrier
	ds_read2_b64 v[8:11], v4 offset0:40 offset1:220
	v_add_u32_e32 v4, 0x1600, v69
	ds_read2_b64 v[0:3], v69 offset1:180
	ds_read2_b64 v[4:7], v4 offset0:16 offset1:196
	v_mov_b32_e32 v62, v28
	v_mov_b32_e32 v63, v28
	;; [unrolled: 1-line block ×13, first 2 shown]
	s_and_saveexec_b64 s[0:1], s[4:5]
	s_cbranch_execz .LBB0_23
; %bb.22:
	v_add_u32_e32 v12, 0x200, v69
	v_add_u32_e32 v48, 0xe00, v69
	ds_read2_b64 v[12:15], v12 offset0:44 offset1:224
	ds_read2_b64 v[52:55], v48 offset0:20 offset1:200
	;; [unrolled: 1-line block ×3, first 2 shown]
.LBB0_23:
	s_or_b64 exec, exec, s[0:1]
	s_waitcnt lgkmcnt(2)
	v_pk_mul_f32 v[90:91], v[24:25], v[10:11]
	s_waitcnt lgkmcnt(0)
	v_pk_mul_f32 v[92:93], v[26:27], v[4:5]
	v_pk_mul_f32 v[24:25], v[20:21], v[14:15] op_sel:[0,1]
	v_pk_mul_f32 v[26:27], v[22:23], v[52:53] op_sel:[0,1]
	v_pk_mul_f32 v[84:85], v[28:29], v[2:3]
	v_pk_mul_f32 v[28:29], v[16:17], v[54:55] op_sel:[0,1]
	v_pk_fma_f32 v[98:99], v[20:21], v[14:15], v[24:25] op_sel:[0,0,1] op_sel_hi:[1,0,0]
	v_pk_fma_f32 v[20:21], v[20:21], v[14:15], v[24:25] op_sel:[0,0,1] op_sel_hi:[1,0,0] neg_lo:[1,0,0] neg_hi:[1,0,0]
	v_pk_fma_f32 v[24:25], v[22:23], v[52:53], v[26:27] op_sel:[0,0,1] op_sel_hi:[1,1,0]
	v_pk_fma_f32 v[14:15], v[22:23], v[52:53], v[26:27] op_sel:[0,0,1] op_sel_hi:[1,0,0] neg_lo:[1,0,0] neg_hi:[1,0,0]
	v_pk_mul_f32 v[94:95], v[18:19], v[48:49] op_sel:[0,1]
	v_mov_b32_e32 v25, v15
	v_pk_fma_f32 v[22:23], v[16:17], v[54:55], v[28:29] op_sel:[0,0,1] op_sel_hi:[1,1,0]
	v_pk_fma_f32 v[14:15], v[16:17], v[54:55], v[28:29] op_sel:[0,0,1] op_sel_hi:[1,0,0] neg_lo:[1,0,0] neg_hi:[1,0,0]
	v_pk_mul_f32 v[96:97], v[86:87], v[50:51] op_sel:[0,1]
	v_mov_b32_e32 v23, v15
	v_pk_fma_f32 v[16:17], v[18:19], v[48:49], v[94:95] op_sel:[0,0,1] op_sel_hi:[1,1,0]
	v_pk_fma_f32 v[14:15], v[18:19], v[48:49], v[94:95] op_sel:[0,0,1] op_sel_hi:[1,0,0] neg_lo:[1,0,0] neg_hi:[1,0,0]
	v_pk_fma_f32 v[18:19], v[86:87], v[50:51], v[96:97] op_sel:[0,0,1] op_sel_hi:[1,1,0]
	v_mov_b32_e32 v17, v15
	v_pk_fma_f32 v[14:15], v[86:87], v[50:51], v[96:97] op_sel:[0,0,1] op_sel_hi:[1,0,0] neg_lo:[1,0,0] neg_hi:[1,0,0]
	v_pk_mul_f32 v[30:31], v[30:31], v[8:9]
	v_mov_b32_e32 v19, v15
	v_mov_b32_e32 v99, v21
	v_pk_add_f32 v[14:15], v[12:13], v[24:25]
	v_pk_add_f32 v[26:27], v[22:23], v[18:19]
	v_mov_b32_e32 v20, v98
	v_pk_fma_f32 v[50:51], v[60:61], v[8:9], v[30:31] op_sel:[0,0,1] op_sel_hi:[1,1,0]
	v_pk_fma_f32 v[8:9], v[60:61], v[8:9], v[30:31] op_sel:[0,0,1] op_sel_hi:[1,1,0] neg_lo:[0,0,1] neg_hi:[0,0,1]
	v_pk_add_f32 v[14:15], v[14:15], v[16:17]
	v_fmac_f32_e32 v20, -0.5, v26
	v_pk_add_f32 v[28:29], v[22:23], v[18:19] neg_lo:[0,1] neg_hi:[0,1]
	s_mov_b32 s6, 0x3f5db3d7
	v_pk_add_f32 v[22:23], v[98:99], v[22:23]
	v_fmac_f32_e32 v21, -0.5, v27
	v_pk_add_f32 v[26:27], v[24:25], v[16:17]
	v_pk_add_f32 v[16:17], v[24:25], v[16:17] neg_lo:[0,1] neg_hi:[0,1]
	s_mov_b32 s12, 0.5
	v_mov_b32_e32 v51, v9
	v_pk_fma_f32 v[8:9], v[58:59], v[10:11], v[90:91] op_sel:[0,0,1] op_sel_hi:[1,1,0]
	v_pk_fma_f32 v[10:11], v[58:59], v[10:11], v[90:91] op_sel:[0,0,1] op_sel_hi:[1,1,0] neg_lo:[0,0,1] neg_hi:[0,0,1]
	v_pk_mul_f32 v[88:89], v[88:89], v[6:7]
	v_pk_add_f32 v[22:23], v[22:23], v[18:19]
	v_fmamk_f32 v18, v28, 0x3f5db3d7, v21
	v_pk_fma_f32 v[12:13], v[26:27], 0.5, v[12:13] op_sel_hi:[1,0,1] neg_lo:[1,0,0] neg_hi:[1,0,0]
	v_pk_mul_f32 v[16:17], v[16:17], s[6:7] op_sel_hi:[1,0]
	s_mov_b32 s7, s12
	v_mov_b32_e32 v9, v11
	v_pk_fma_f32 v[10:11], v[56:57], v[4:5], v[92:93] op_sel:[0,0,1] op_sel_hi:[1,1,0]
	v_pk_fma_f32 v[4:5], v[56:57], v[4:5], v[92:93] op_sel:[0,0,1] op_sel_hi:[1,1,0] neg_lo:[0,0,1] neg_hi:[0,0,1]
	v_fmamk_f32 v48, v29, 0xbf5db3d7, v20
	v_fmac_f32_e32 v20, 0x3f5db3d7, v29
	v_fmac_f32_e32 v21, 0xbf5db3d7, v28
	v_pk_add_f32 v[28:29], v[12:13], v[16:17] op_sel:[0,1] op_sel_hi:[1,0] neg_lo:[0,1] neg_hi:[0,1]
	v_pk_add_f32 v[12:13], v[12:13], v[16:17] op_sel:[0,1] op_sel_hi:[1,0]
	s_mov_b32 s13, s6
	v_pk_mul_f32 v[16:17], v[18:19], s[6:7] op_sel_hi:[0,1]
	v_mov_b32_e32 v11, v5
	v_pk_fma_f32 v[4:5], v[82:83], v[6:7], v[88:89] op_sel:[0,0,1] op_sel_hi:[1,1,0]
	v_pk_fma_f32 v[6:7], v[82:83], v[6:7], v[88:89] op_sel:[0,0,1] op_sel_hi:[1,1,0] neg_lo:[0,0,1] neg_hi:[0,0,1]
	v_pk_fma_f32 v[26:27], v[48:49], s[12:13], v[16:17] neg_lo:[0,0,1] neg_hi:[0,0,1]
	v_pk_fma_f32 v[16:17], v[48:49], s[12:13], v[16:17] op_sel_hi:[0,1,1]
	v_pk_fma_f32 v[48:49], v[62:63], v[2:3], v[84:85] op_sel:[0,0,1] op_sel_hi:[1,1,0]
	v_pk_fma_f32 v[2:3], v[62:63], v[2:3], v[84:85] op_sel:[0,0,1] op_sel_hi:[1,1,0] neg_lo:[0,0,1] neg_hi:[0,0,1]
	v_mov_b32_e32 v5, v7
	v_mov_b32_e32 v49, v3
	v_pk_add_f32 v[30:31], v[8:9], v[4:5]
	v_mov_b32_e32 v2, v48
	v_pk_add_f32 v[6:7], v[0:1], v[50:51]
	v_fmac_f32_e32 v2, -0.5, v30
	v_pk_add_f32 v[52:53], v[8:9], v[4:5] neg_lo:[0,1] neg_hi:[0,1]
	v_pk_add_f32 v[8:9], v[48:49], v[8:9]
	v_fmac_f32_e32 v3, -0.5, v31
	v_pk_add_f32 v[6:7], v[6:7], v[10:11]
	v_fmamk_f32 v30, v53, 0xbf5db3d7, v2
	v_fmac_f32_e32 v2, 0x3f5db3d7, v53
	v_pk_add_f32 v[4:5], v[8:9], v[4:5]
	v_fmamk_f32 v8, v52, 0x3f5db3d7, v3
	v_fmac_f32_e32 v3, 0xbf5db3d7, v52
	v_pk_add_f32 v[52:53], v[50:51], v[10:11]
	v_pk_add_f32 v[10:11], v[50:51], v[10:11] neg_lo:[0,1] neg_hi:[0,1]
	v_pk_fma_f32 v[0:1], v[52:53], 0.5, v[0:1] op_sel_hi:[1,0,1] neg_lo:[1,0,0] neg_hi:[1,0,0]
	v_pk_mul_f32 v[10:11], v[10:11], s[6:7] op_sel_hi:[1,0]
	v_pk_mul_f32 v[8:9], v[8:9], s[6:7] op_sel_hi:[0,1]
	v_pk_add_f32 v[50:51], v[0:1], v[10:11] op_sel:[0,1] op_sel_hi:[1,0] neg_lo:[0,1] neg_hi:[0,1]
	v_pk_add_f32 v[0:1], v[0:1], v[10:11] op_sel:[0,1] op_sel_hi:[1,0]
	v_pk_fma_f32 v[52:53], v[30:31], s[12:13], v[8:9] neg_lo:[0,0,1] neg_hi:[0,0,1]
	v_pk_fma_f32 v[8:9], v[30:31], s[12:13], v[8:9] op_sel_hi:[0,1,1]
	v_mov_b32_e32 v10, v50
	v_mov_b32_e32 v11, v1
	;; [unrolled: 1-line block ×3, first 2 shown]
	v_pk_add_f32 v[48:49], v[6:7], v[4:5]
	v_pk_add_f32 v[8:9], v[10:11], v[52:53]
	s_barrier
	ds_write2_b64 v128, v[48:49], v[8:9] offset1:60
	v_mov_b32_e32 v8, v3
	s_mov_b32 s0, -0.5
	s_mov_b32 s1, s6
	v_mov_b32_e32 v16, v21
	v_pk_mul_f32 v[8:9], v[8:9], s[6:7] op_sel_hi:[0,1]
	v_mov_b32_e32 v27, v17
	v_pk_mul_f32 v[16:17], v[16:17], s[6:7] op_sel_hi:[0,1]
	v_pk_fma_f32 v[2:3], v[2:3], s[0:1], v[8:9] op_sel_hi:[0,1,1] neg_lo:[0,0,1] neg_hi:[0,0,1]
	v_mov_b32_e32 v1, v51
	v_mov_b32_e32 v24, v28
	;; [unrolled: 1-line block ×4, first 2 shown]
	v_pk_fma_f32 v[28:29], v[20:21], s[0:1], v[16:17] op_sel_hi:[0,1,1] neg_lo:[0,0,1] neg_hi:[0,0,1]
	v_pk_add_f32 v[8:9], v[0:1], v[2:3]
	v_pk_add_f32 v[4:5], v[6:7], v[4:5] neg_lo:[0,1] neg_hi:[0,1]
	v_pk_add_f32 v[16:17], v[14:15], v[22:23] neg_lo:[0,1] neg_hi:[0,1]
	;; [unrolled: 1-line block ×4, first 2 shown]
	ds_write2_b64 v128, v[8:9], v[4:5] offset0:120 offset1:180
	v_pk_add_f32 v[4:5], v[10:11], v[52:53] neg_lo:[0,1] neg_hi:[0,1]
	v_pk_add_f32 v[0:1], v[0:1], v[2:3] neg_lo:[0,1] neg_hi:[0,1]
	v_add_u32_e32 v2, 0x400, v128
	ds_write2_b64 v2, v[4:5], v[0:1] offset0:112 offset1:172
	s_and_saveexec_b64 s[0:1], s[4:5]
	s_cbranch_execz .LBB0_25
; %bb.24:
	v_mul_u32_u24_e32 v0, 0x168, v123
	v_add_u32_e32 v0, v0, v125
	v_lshl_add_u32 v4, v0, 3, v122
	v_pk_add_f32 v[0:1], v[14:15], v[22:23]
	v_pk_add_f32 v[2:3], v[24:25], v[26:27]
	ds_write2_b64 v4, v[0:1], v[2:3] offset1:60
	v_pk_add_f32 v[0:1], v[12:13], v[28:29]
	ds_write2_b64 v4, v[0:1], v[16:17] offset0:120 offset1:180
	v_add_u32_e32 v0, 0x400, v4
	ds_write2_b64 v0, v[20:21], v[18:19] offset0:112 offset1:172
.LBB0_25:
	s_or_b64 exec, exec, s[0:1]
	v_add_u32_e32 v4, 0x1400, v69
	s_waitcnt lgkmcnt(0)
	s_barrier
	v_add_u32_e32 v53, 0x400, v69
	ds_read2_b64 v[12:15], v4 offset0:80 offset1:188
	v_add_u32_e32 v4, 0xc00, v69
	ds_read2_b64 v[8:11], v69 offset1:108
	ds_read2_b64 v[0:3], v53 offset0:88 offset1:232
	ds_read2_b64 v[4:7], v4 offset0:84 offset1:192
	ds_read_b64 v[26:27], v69 offset:7488
	v_mov_b32_e32 v24, v44
	v_mov_b32_e32 v25, v44
	v_mov_b32_e32 v44, v45
	v_mov_b32_e32 v22, v46
	v_mov_b32_e32 v23, v46
	v_mov_b32_e32 v46, v47
	v_mov_b32_e32 v48, v36
	v_mov_b32_e32 v49, v36
	v_mov_b32_e32 v36, v37
	v_mov_b32_e32 v30, v38
	v_mov_b32_e32 v31, v38
	v_mov_b32_e32 v38, v39
	v_mov_b32_e32 v28, v40
	v_mov_b32_e32 v29, v40
	v_mov_b32_e32 v40, v41
	v_mov_b32_e32 v50, v42
	v_mov_b32_e32 v51, v42
	v_mov_b32_e32 v42, v43
	v_add_u32_e32 v52, 0x6c0, v67
	s_and_saveexec_b64 s[0:1], s[2:3]
	s_cbranch_execz .LBB0_27
; %bb.26:
	ds_read_b64 v[16:17], v69 offset:2592
	ds_read_b64 v[20:21], v69 offset:5472
	;; [unrolled: 1-line block ×3, first 2 shown]
.LBB0_27:
	s_or_b64 exec, exec, s[0:1]
	s_waitcnt lgkmcnt(2)
	v_pk_mul_f32 v[36:37], v[36:37], v[2:3]
	v_pk_mul_f32 v[38:39], v[38:39], v[12:13]
	v_pk_fma_f32 v[54:55], v[48:49], v[2:3], v[36:37] op_sel:[0,0,1] op_sel_hi:[1,1,0]
	v_pk_fma_f32 v[2:3], v[48:49], v[2:3], v[36:37] op_sel:[0,0,1] op_sel_hi:[1,1,0] neg_lo:[0,0,1] neg_hi:[0,0,1]
	s_mov_b32 s0, 0x3f5db3d7
	v_mov_b32_e32 v55, v3
	v_pk_fma_f32 v[2:3], v[30:31], v[12:13], v[38:39] op_sel:[0,0,1] op_sel_hi:[1,1,0]
	v_pk_fma_f32 v[12:13], v[30:31], v[12:13], v[38:39] op_sel:[0,0,1] op_sel_hi:[1,1,0] neg_lo:[0,0,1] neg_hi:[0,0,1]
	s_waitcnt lgkmcnt(1)
	v_pk_mul_f32 v[40:41], v[40:41], v[4:5]
	v_mov_b32_e32 v3, v13
	v_pk_add_f32 v[12:13], v[8:9], v[54:55]
	v_pk_add_f32 v[30:31], v[54:55], v[2:3]
	;; [unrolled: 1-line block ×3, first 2 shown]
	v_pk_add_f32 v[2:3], v[54:55], v[2:3] neg_lo:[0,1] neg_hi:[0,1]
	v_pk_fma_f32 v[8:9], v[30:31], 0.5, v[8:9] op_sel_hi:[1,0,1] neg_lo:[1,0,0] neg_hi:[1,0,0]
	v_pk_mul_f32 v[2:3], v[2:3], s[0:1] op_sel_hi:[1,0]
	v_pk_mul_f32 v[42:43], v[42:43], v[14:15]
	v_pk_add_f32 v[30:31], v[8:9], v[2:3] op_sel:[0,1] op_sel_hi:[1,0] neg_lo:[0,1] neg_hi:[0,1]
	v_pk_add_f32 v[2:3], v[8:9], v[2:3] op_sel:[0,1] op_sel_hi:[1,0]
	v_mov_b32_e32 v8, v30
	v_mov_b32_e32 v9, v3
	;; [unrolled: 1-line block ×3, first 2 shown]
	v_pk_fma_f32 v[30:31], v[28:29], v[4:5], v[40:41] op_sel:[0,0,1] op_sel_hi:[1,1,0]
	v_pk_fma_f32 v[4:5], v[28:29], v[4:5], v[40:41] op_sel:[0,0,1] op_sel_hi:[1,1,0] neg_lo:[0,0,1] neg_hi:[0,0,1]
	v_pk_mul_f32 v[44:45], v[44:45], v[6:7]
	v_mov_b32_e32 v31, v5
	v_pk_fma_f32 v[4:5], v[50:51], v[14:15], v[42:43] op_sel:[0,0,1] op_sel_hi:[1,1,0]
	v_pk_fma_f32 v[14:15], v[50:51], v[14:15], v[42:43] op_sel:[0,0,1] op_sel_hi:[1,1,0] neg_lo:[0,0,1] neg_hi:[0,0,1]
	s_waitcnt lgkmcnt(0)
	v_pk_mul_f32 v[46:47], v[46:47], v[26:27]
	v_mov_b32_e32 v5, v15
	v_pk_add_f32 v[14:15], v[10:11], v[30:31]
	s_nop 0
	v_pk_add_f32 v[14:15], v[14:15], v[4:5]
	ds_write2_b64 v69, v[12:13], v[14:15] offset1:108
	v_pk_add_f32 v[12:13], v[30:31], v[4:5]
	v_pk_add_f32 v[4:5], v[30:31], v[4:5] neg_lo:[0,1] neg_hi:[0,1]
	v_pk_fma_f32 v[10:11], v[12:13], 0.5, v[10:11] op_sel_hi:[1,0,1] neg_lo:[1,0,0] neg_hi:[1,0,0]
	v_pk_mul_f32 v[4:5], v[4:5], s[0:1] op_sel_hi:[1,0]
	s_nop 0
	v_pk_add_f32 v[12:13], v[10:11], v[4:5] op_sel:[0,1] op_sel_hi:[1,0] neg_lo:[0,1] neg_hi:[0,1]
	v_pk_add_f32 v[4:5], v[10:11], v[4:5] op_sel:[0,1] op_sel_hi:[1,0]
	v_mov_b32_e32 v10, v12
	v_mov_b32_e32 v11, v5
	v_add_u32_e32 v5, 0xea0, v69
	ds_write2_b64 v5, v[10:11], v[2:3] offset1:252
	v_mov_b32_e32 v5, v13
	ds_write_b64 v69, v[4:5] offset:6624
	v_pk_fma_f32 v[2:3], v[24:25], v[6:7], v[44:45] op_sel:[0,0,1] op_sel_hi:[1,1,0]
	v_pk_fma_f32 v[4:5], v[24:25], v[6:7], v[44:45] op_sel:[0,0,1] op_sel_hi:[1,1,0] neg_lo:[0,0,1] neg_hi:[0,0,1]
	v_pk_fma_f32 v[6:7], v[22:23], v[26:27], v[46:47] op_sel:[0,0,1] op_sel_hi:[1,1,0] neg_lo:[0,0,1] neg_hi:[0,0,1]
	v_mov_b32_e32 v3, v5
	v_pk_fma_f32 v[4:5], v[22:23], v[26:27], v[46:47] op_sel:[0,0,1] op_sel_hi:[1,1,0]
	s_nop 0
	v_mov_b32_e32 v5, v7
	v_pk_add_f32 v[6:7], v[0:1], v[2:3]
	s_nop 0
	v_pk_add_f32 v[6:7], v[6:7], v[4:5]
	ds_write2_b64 v53, v[6:7], v[8:9] offset0:88 offset1:232
	v_pk_add_f32 v[6:7], v[2:3], v[4:5]
	v_pk_add_f32 v[2:3], v[2:3], v[4:5] neg_lo:[0,1] neg_hi:[0,1]
	v_pk_fma_f32 v[0:1], v[6:7], 0.5, v[0:1] op_sel_hi:[1,0,1] neg_lo:[1,0,0] neg_hi:[1,0,0]
	v_pk_mul_f32 v[2:3], v[2:3], s[0:1] op_sel_hi:[1,0]
	s_nop 0
	v_pk_add_f32 v[4:5], v[0:1], v[2:3] op_sel:[0,1] op_sel_hi:[1,0] neg_lo:[0,1] neg_hi:[0,1]
	v_pk_add_f32 v[0:1], v[0:1], v[2:3] op_sel:[0,1] op_sel_hi:[1,0]
	v_mov_b32_e32 v2, v4
	v_mov_b32_e32 v3, v1
	;; [unrolled: 1-line block ×3, first 2 shown]
	ds_write_b64 v52, v[2:3] offset:2880
	ds_write_b64 v52, v[0:1] offset:5760
	s_and_saveexec_b64 s[6:7], s[2:3]
	s_cbranch_execz .LBB0_29
; %bb.28:
	v_pk_mul_f32 v[0:1], v[32:33], v[20:21] op_sel:[0,1]
	v_pk_mul_f32 v[2:3], v[34:35], v[18:19] op_sel:[0,1]
	v_pk_fma_f32 v[4:5], v[32:33], v[20:21], v[0:1] op_sel:[0,0,1] op_sel_hi:[1,1,0]
	v_pk_fma_f32 v[0:1], v[32:33], v[20:21], v[0:1] op_sel:[0,0,1] op_sel_hi:[1,0,0] neg_lo:[1,0,0] neg_hi:[1,0,0]
	s_nop 0
	v_mov_b32_e32 v5, v1
	v_pk_fma_f32 v[0:1], v[34:35], v[18:19], v[2:3] op_sel:[0,0,1] op_sel_hi:[1,1,0]
	v_pk_fma_f32 v[2:3], v[34:35], v[18:19], v[2:3] op_sel:[0,0,1] op_sel_hi:[1,0,0] neg_lo:[1,0,0] neg_hi:[1,0,0]
	s_nop 0
	v_mov_b32_e32 v1, v3
	v_pk_add_f32 v[2:3], v[16:17], v[4:5]
	s_nop 0
	v_pk_add_f32 v[2:3], v[2:3], v[0:1]
	ds_write_b64 v69, v[2:3] offset:2592
	v_pk_add_f32 v[2:3], v[4:5], v[0:1]
	v_pk_add_f32 v[0:1], v[4:5], v[0:1] neg_lo:[0,1] neg_hi:[0,1]
	v_pk_fma_f32 v[2:3], -0.5, v[2:3], v[16:17] op_sel_hi:[0,1,1]
	v_pk_mul_f32 v[0:1], v[0:1], s[0:1] op_sel_hi:[1,0]
	s_nop 0
	v_pk_add_f32 v[4:5], v[2:3], v[0:1] op_sel:[0,1] op_sel_hi:[1,0] neg_lo:[0,1] neg_hi:[0,1]
	v_pk_add_f32 v[0:1], v[2:3], v[0:1] op_sel:[0,1] op_sel_hi:[1,0]
	v_mov_b32_e32 v2, v4
	v_mov_b32_e32 v3, v1
	;; [unrolled: 1-line block ×3, first 2 shown]
	ds_write_b64 v69, v[2:3] offset:5472
	ds_write_b64 v69, v[0:1] offset:8352
.LBB0_29:
	s_or_b64 exec, exec, s[6:7]
	s_waitcnt lgkmcnt(0)
	s_barrier
	ds_read2_b64 v[0:3], v69 offset1:180
	v_mad_u64_u32 v[6:7], s[0:1], s10, v68, 0
	v_mov_b32_e32 v8, v7
	v_mad_u64_u32 v[8:9], s[0:1], s11, v68, v[8:9]
	v_mov_b32_e32 v7, v8
	s_waitcnt lgkmcnt(0)
	v_mul_f32_e32 v8, v81, v1
	v_fmac_f32_e32 v8, v80, v0
	v_mul_f32_e32 v0, v81, v0
	s_mov_b32 s0, 0xc901e574
	v_fma_f32 v0, v80, v1, -v0
	v_cvt_f64_f32_e32 v[8:9], v8
	s_mov_b32 s1, 0x3f4e573a
	v_cvt_f64_f32_e32 v[0:1], v0
	v_mul_f64 v[8:9], v[8:9], s[0:1]
	v_mul_f64 v[0:1], v[0:1], s[0:1]
	v_cvt_f32_f64_e32 v8, v[8:9]
	v_cvt_f32_f64_e32 v9, v[0:1]
	v_mad_u64_u32 v[0:1], s[2:3], s8, v66, 0
	v_mov_b32_e32 v10, v1
	v_mov_b32_e32 v4, s14
	;; [unrolled: 1-line block ×3, first 2 shown]
	v_mad_u64_u32 v[10:11], s[2:3], s9, v66, v[10:11]
	v_mov_b32_e32 v1, v10
	v_lshl_add_u64 v[4:5], v[6:7], 3, v[4:5]
	v_lshl_add_u64 v[4:5], v[0:1], 3, v[4:5]
	v_mul_f32_e32 v0, v79, v3
	v_fmac_f32_e32 v0, v78, v2
	v_cvt_f64_f32_e32 v[0:1], v0
	v_mul_f64 v[0:1], v[0:1], s[0:1]
	v_cvt_f32_f64_e32 v6, v[0:1]
	v_mul_f32_e32 v0, v79, v2
	v_fma_f32 v0, v78, v3, -v0
	v_cvt_f64_f32_e32 v[0:1], v0
	v_mul_f64 v[0:1], v[0:1], s[0:1]
	v_cvt_f32_f64_e32 v7, v[0:1]
	v_add_u32_e32 v0, 0xa00, v69
	ds_read2_b64 v[0:3], v0 offset0:40 offset1:220
	s_mul_i32 s2, s9, 0xb4
	s_mul_hi_u32 s3, s8, 0xb4
	s_add_i32 s3, s3, s2
	s_mul_i32 s2, s8, 0xb4
	s_lshl_b64 s[2:3], s[2:3], 3
	global_store_dwordx2 v[4:5], v[8:9], off
	v_lshl_add_u64 v[4:5], v[4:5], 0, s[2:3]
	global_store_dwordx2 v[4:5], v[6:7], off
	s_waitcnt lgkmcnt(0)
	v_mul_f32_e32 v6, v75, v1
	v_fmac_f32_e32 v6, v74, v0
	v_mul_f32_e32 v0, v75, v0
	v_fma_f32 v0, v74, v1, -v0
	v_cvt_f64_f32_e32 v[6:7], v6
	v_cvt_f64_f32_e32 v[0:1], v0
	v_mul_f64 v[6:7], v[6:7], s[0:1]
	v_mul_f64 v[0:1], v[0:1], s[0:1]
	v_cvt_f32_f64_e32 v6, v[6:7]
	v_cvt_f32_f64_e32 v7, v[0:1]
	v_mul_f32_e32 v0, v77, v3
	v_fmac_f32_e32 v0, v76, v2
	v_cvt_f64_f32_e32 v[0:1], v0
	v_lshl_add_u64 v[4:5], v[4:5], 0, s[2:3]
	v_mul_f64 v[0:1], v[0:1], s[0:1]
	global_store_dwordx2 v[4:5], v[6:7], off
	v_cvt_f32_f64_e32 v6, v[0:1]
	v_mul_f32_e32 v0, v77, v2
	v_fma_f32 v0, v76, v3, -v0
	v_cvt_f64_f32_e32 v[8:9], v0
	v_add_u32_e32 v0, 0x1600, v69
	ds_read2_b64 v[0:3], v0 offset0:16 offset1:196
	v_mul_f64 v[8:9], v[8:9], s[0:1]
	v_cvt_f32_f64_e32 v7, v[8:9]
	v_lshl_add_u64 v[4:5], v[4:5], 0, s[2:3]
	global_store_dwordx2 v[4:5], v[6:7], off
	s_waitcnt lgkmcnt(0)
	v_mul_f32_e32 v6, v73, v1
	v_fmac_f32_e32 v6, v72, v0
	v_mul_f32_e32 v0, v73, v0
	v_fma_f32 v0, v72, v1, -v0
	v_cvt_f64_f32_e32 v[6:7], v6
	v_cvt_f64_f32_e32 v[0:1], v0
	v_mul_f64 v[6:7], v[6:7], s[0:1]
	v_mul_f64 v[0:1], v[0:1], s[0:1]
	v_cvt_f32_f64_e32 v6, v[6:7]
	v_cvt_f32_f64_e32 v7, v[0:1]
	v_lshl_add_u64 v[0:1], v[4:5], 0, s[2:3]
	v_mul_f32_e32 v4, v71, v3
	v_fmac_f32_e32 v4, v70, v2
	v_mul_f32_e32 v2, v71, v2
	v_fma_f32 v2, v70, v3, -v2
	v_cvt_f64_f32_e32 v[4:5], v4
	v_cvt_f64_f32_e32 v[2:3], v2
	v_mul_f64 v[4:5], v[4:5], s[0:1]
	v_mul_f64 v[2:3], v[2:3], s[0:1]
	global_store_dwordx2 v[0:1], v[6:7], off
	v_cvt_f32_f64_e32 v4, v[4:5]
	v_cvt_f32_f64_e32 v5, v[2:3]
	v_lshl_add_u64 v[0:1], v[0:1], 0, s[2:3]
	global_store_dwordx2 v[0:1], v[4:5], off
	s_and_b64 exec, exec, s[4:5]
	s_cbranch_execz .LBB0_31
; %bb.30:
	global_load_dwordx2 v[14:15], v[64:65], off offset:864
	global_load_dwordx2 v[16:17], v[64:65], off offset:2304
	;; [unrolled: 1-line block ×3, first 2 shown]
	s_movk_i32 s4, 0x1000
	v_add_co_u32_e32 v2, vcc, s4, v64
	v_mov_b32_e32 v6, 0xffffe740
	s_nop 0
	v_addc_co_u32_e32 v3, vcc, 0, v65, vcc
	global_load_dwordx2 v[20:21], v[2:3], off offset:1088
	global_load_dwordx2 v[22:23], v[2:3], off offset:2528
	;; [unrolled: 1-line block ×3, first 2 shown]
	v_add_u32_e32 v2, 0x200, v69
	ds_read2_b64 v[2:5], v2 offset0:44 offset1:224
	v_add_u32_e32 v7, 0xe00, v69
	v_add_u32_e32 v10, 0x1800, v69
	v_mad_u64_u32 v[0:1], s[4:5], s8, v6, v[0:1]
	ds_read2_b64 v[6:9], v7 offset0:20 offset1:200
	ds_read2_b64 v[10:13], v10 offset0:60 offset1:240
	s_mul_i32 s6, s9, 0xffffe740
	s_sub_i32 s4, s6, s8
	v_add_u32_e32 v1, s4, v1
	v_lshl_add_u64 v[26:27], v[0:1], 0, s[2:3]
	v_lshl_add_u64 v[28:29], v[26:27], 0, s[2:3]
	;; [unrolled: 1-line block ×4, first 2 shown]
	s_waitcnt vmcnt(5) lgkmcnt(2)
	v_mul_f32_e32 v34, v3, v15
	v_mul_f32_e32 v15, v2, v15
	s_waitcnt vmcnt(4)
	v_mul_f32_e32 v35, v5, v17
	v_mul_f32_e32 v17, v4, v17
	s_waitcnt vmcnt(3) lgkmcnt(1)
	v_mul_f32_e32 v36, v7, v19
	v_mul_f32_e32 v19, v6, v19
	v_fmac_f32_e32 v34, v2, v14
	v_fma_f32 v14, v14, v3, -v15
	v_fmac_f32_e32 v35, v4, v16
	v_fma_f32 v15, v16, v5, -v17
	;; [unrolled: 2-line block ×3, first 2 shown]
	v_cvt_f64_f32_e32 v[2:3], v34
	v_cvt_f64_f32_e32 v[4:5], v14
	s_waitcnt vmcnt(2)
	v_mul_f32_e32 v34, v9, v21
	v_mul_f32_e32 v21, v8, v21
	v_cvt_f64_f32_e32 v[6:7], v35
	v_cvt_f64_f32_e32 v[14:15], v15
	;; [unrolled: 1-line block ×4, first 2 shown]
	s_waitcnt vmcnt(1) lgkmcnt(0)
	v_mul_f32_e32 v35, v11, v23
	v_mul_f32_e32 v23, v10, v23
	v_mul_f64 v[2:3], v[2:3], s[0:1]
	v_mul_f64 v[4:5], v[4:5], s[0:1]
	v_fmac_f32_e32 v34, v8, v20
	v_fma_f32 v20, v20, v9, -v21
	v_mul_f64 v[6:7], v[6:7], s[0:1]
	v_mul_f64 v[14:15], v[14:15], s[0:1]
	;; [unrolled: 1-line block ×4, first 2 shown]
	v_fmac_f32_e32 v35, v10, v22
	v_fma_f32 v21, v22, v11, -v23
	v_cvt_f32_f64_e32 v2, v[2:3]
	v_cvt_f32_f64_e32 v3, v[4:5]
	v_cvt_f64_f32_e32 v[8:9], v34
	v_cvt_f64_f32_e32 v[10:11], v20
	v_cvt_f32_f64_e32 v4, v[6:7]
	v_cvt_f32_f64_e32 v5, v[14:15]
	;; [unrolled: 1-line block ×4, first 2 shown]
	v_cvt_f64_f32_e32 v[14:15], v35
	v_cvt_f64_f32_e32 v[16:17], v21
	global_store_dwordx2 v[0:1], v[2:3], off
	global_store_dwordx2 v[26:27], v[4:5], off
	;; [unrolled: 1-line block ×3, first 2 shown]
	v_mul_f64 v[0:1], v[8:9], s[0:1]
	v_mul_f64 v[2:3], v[10:11], s[0:1]
	s_waitcnt vmcnt(3)
	v_mul_f32_e32 v36, v13, v25
	v_mul_f32_e32 v25, v12, v25
	v_mul_f64 v[4:5], v[14:15], s[0:1]
	v_mul_f64 v[6:7], v[16:17], s[0:1]
	v_cvt_f32_f64_e32 v0, v[0:1]
	v_cvt_f32_f64_e32 v1, v[2:3]
	v_fmac_f32_e32 v36, v12, v24
	v_cvt_f32_f64_e32 v2, v[4:5]
	v_cvt_f32_f64_e32 v3, v[6:7]
	global_store_dwordx2 v[30:31], v[0:1], off
	global_store_dwordx2 v[32:33], v[2:3], off
	v_fma_f32 v0, v24, v13, -v25
	v_cvt_f64_f32_e32 v[18:19], v36
	v_cvt_f64_f32_e32 v[0:1], v0
	v_mul_f64 v[8:9], v[18:19], s[0:1]
	v_mul_f64 v[0:1], v[0:1], s[0:1]
	v_cvt_f32_f64_e32 v4, v[8:9]
	v_cvt_f32_f64_e32 v5, v[0:1]
	v_lshl_add_u64 v[0:1], v[32:33], 0, s[2:3]
	global_store_dwordx2 v[0:1], v[4:5], off
.LBB0_31:
	s_endpgm
	.section	.rodata,"a",@progbits
	.p2align	6, 0x0
	.amdhsa_kernel bluestein_single_fwd_len1080_dim1_sp_op_CI_CI
		.amdhsa_group_segment_fixed_size 17280
		.amdhsa_private_segment_fixed_size 0
		.amdhsa_kernarg_size 104
		.amdhsa_user_sgpr_count 2
		.amdhsa_user_sgpr_dispatch_ptr 0
		.amdhsa_user_sgpr_queue_ptr 0
		.amdhsa_user_sgpr_kernarg_segment_ptr 1
		.amdhsa_user_sgpr_dispatch_id 0
		.amdhsa_user_sgpr_kernarg_preload_length 0
		.amdhsa_user_sgpr_kernarg_preload_offset 0
		.amdhsa_user_sgpr_private_segment_size 0
		.amdhsa_uses_dynamic_stack 0
		.amdhsa_enable_private_segment 0
		.amdhsa_system_sgpr_workgroup_id_x 1
		.amdhsa_system_sgpr_workgroup_id_y 0
		.amdhsa_system_sgpr_workgroup_id_z 0
		.amdhsa_system_sgpr_workgroup_info 0
		.amdhsa_system_vgpr_workitem_id 0
		.amdhsa_next_free_vgpr 148
		.amdhsa_next_free_sgpr 22
		.amdhsa_accum_offset 148
		.amdhsa_reserve_vcc 1
		.amdhsa_float_round_mode_32 0
		.amdhsa_float_round_mode_16_64 0
		.amdhsa_float_denorm_mode_32 3
		.amdhsa_float_denorm_mode_16_64 3
		.amdhsa_dx10_clamp 1
		.amdhsa_ieee_mode 1
		.amdhsa_fp16_overflow 0
		.amdhsa_tg_split 0
		.amdhsa_exception_fp_ieee_invalid_op 0
		.amdhsa_exception_fp_denorm_src 0
		.amdhsa_exception_fp_ieee_div_zero 0
		.amdhsa_exception_fp_ieee_overflow 0
		.amdhsa_exception_fp_ieee_underflow 0
		.amdhsa_exception_fp_ieee_inexact 0
		.amdhsa_exception_int_div_zero 0
	.end_amdhsa_kernel
	.text
.Lfunc_end0:
	.size	bluestein_single_fwd_len1080_dim1_sp_op_CI_CI, .Lfunc_end0-bluestein_single_fwd_len1080_dim1_sp_op_CI_CI
                                        ; -- End function
	.section	.AMDGPU.csdata,"",@progbits
; Kernel info:
; codeLenInByte = 10880
; NumSgprs: 28
; NumVgprs: 148
; NumAgprs: 0
; TotalNumVgprs: 148
; ScratchSize: 0
; MemoryBound: 0
; FloatMode: 240
; IeeeMode: 1
; LDSByteSize: 17280 bytes/workgroup (compile time only)
; SGPRBlocks: 3
; VGPRBlocks: 18
; NumSGPRsForWavesPerEU: 28
; NumVGPRsForWavesPerEU: 148
; AccumOffset: 148
; Occupancy: 3
; WaveLimiterHint : 1
; COMPUTE_PGM_RSRC2:SCRATCH_EN: 0
; COMPUTE_PGM_RSRC2:USER_SGPR: 2
; COMPUTE_PGM_RSRC2:TRAP_HANDLER: 0
; COMPUTE_PGM_RSRC2:TGID_X_EN: 1
; COMPUTE_PGM_RSRC2:TGID_Y_EN: 0
; COMPUTE_PGM_RSRC2:TGID_Z_EN: 0
; COMPUTE_PGM_RSRC2:TIDIG_COMP_CNT: 0
; COMPUTE_PGM_RSRC3_GFX90A:ACCUM_OFFSET: 36
; COMPUTE_PGM_RSRC3_GFX90A:TG_SPLIT: 0
	.text
	.p2alignl 6, 3212836864
	.fill 256, 4, 3212836864
	.type	__hip_cuid_8eb5e100d4e8c8ba,@object ; @__hip_cuid_8eb5e100d4e8c8ba
	.section	.bss,"aw",@nobits
	.globl	__hip_cuid_8eb5e100d4e8c8ba
__hip_cuid_8eb5e100d4e8c8ba:
	.byte	0                               ; 0x0
	.size	__hip_cuid_8eb5e100d4e8c8ba, 1

	.ident	"AMD clang version 19.0.0git (https://github.com/RadeonOpenCompute/llvm-project roc-6.4.0 25133 c7fe45cf4b819c5991fe208aaa96edf142730f1d)"
	.section	".note.GNU-stack","",@progbits
	.addrsig
	.addrsig_sym __hip_cuid_8eb5e100d4e8c8ba
	.amdgpu_metadata
---
amdhsa.kernels:
  - .agpr_count:     0
    .args:
      - .actual_access:  read_only
        .address_space:  global
        .offset:         0
        .size:           8
        .value_kind:     global_buffer
      - .actual_access:  read_only
        .address_space:  global
        .offset:         8
        .size:           8
        .value_kind:     global_buffer
      - .actual_access:  read_only
        .address_space:  global
        .offset:         16
        .size:           8
        .value_kind:     global_buffer
      - .actual_access:  read_only
        .address_space:  global
        .offset:         24
        .size:           8
        .value_kind:     global_buffer
      - .actual_access:  read_only
        .address_space:  global
        .offset:         32
        .size:           8
        .value_kind:     global_buffer
      - .offset:         40
        .size:           8
        .value_kind:     by_value
      - .address_space:  global
        .offset:         48
        .size:           8
        .value_kind:     global_buffer
      - .address_space:  global
        .offset:         56
        .size:           8
        .value_kind:     global_buffer
      - .address_space:  global
        .offset:         64
        .size:           8
        .value_kind:     global_buffer
      - .address_space:  global
        .offset:         72
        .size:           8
        .value_kind:     global_buffer
      - .offset:         80
        .size:           4
        .value_kind:     by_value
      - .address_space:  global
        .offset:         88
        .size:           8
        .value_kind:     global_buffer
      - .address_space:  global
        .offset:         96
        .size:           8
        .value_kind:     global_buffer
    .group_segment_fixed_size: 17280
    .kernarg_segment_align: 8
    .kernarg_segment_size: 104
    .language:       OpenCL C
    .language_version:
      - 2
      - 0
    .max_flat_workgroup_size: 216
    .name:           bluestein_single_fwd_len1080_dim1_sp_op_CI_CI
    .private_segment_fixed_size: 0
    .sgpr_count:     28
    .sgpr_spill_count: 0
    .symbol:         bluestein_single_fwd_len1080_dim1_sp_op_CI_CI.kd
    .uniform_work_group_size: 1
    .uses_dynamic_stack: false
    .vgpr_count:     148
    .vgpr_spill_count: 0
    .wavefront_size: 64
amdhsa.target:   amdgcn-amd-amdhsa--gfx950
amdhsa.version:
  - 1
  - 2
...

	.end_amdgpu_metadata
